;; amdgpu-corpus repo=ROCm/rocFFT kind=compiled arch=gfx1201 opt=O3
	.text
	.amdgcn_target "amdgcn-amd-amdhsa--gfx1201"
	.amdhsa_code_object_version 6
	.protected	fft_rtc_back_len1820_factors_10_13_7_2_wgs_182_tpt_182_halfLds_dp_ip_CI_unitstride_sbrr_C2R_dirReg ; -- Begin function fft_rtc_back_len1820_factors_10_13_7_2_wgs_182_tpt_182_halfLds_dp_ip_CI_unitstride_sbrr_C2R_dirReg
	.globl	fft_rtc_back_len1820_factors_10_13_7_2_wgs_182_tpt_182_halfLds_dp_ip_CI_unitstride_sbrr_C2R_dirReg
	.p2align	8
	.type	fft_rtc_back_len1820_factors_10_13_7_2_wgs_182_tpt_182_halfLds_dp_ip_CI_unitstride_sbrr_C2R_dirReg,@function
fft_rtc_back_len1820_factors_10_13_7_2_wgs_182_tpt_182_halfLds_dp_ip_CI_unitstride_sbrr_C2R_dirReg: ; @fft_rtc_back_len1820_factors_10_13_7_2_wgs_182_tpt_182_halfLds_dp_ip_CI_unitstride_sbrr_C2R_dirReg
; %bb.0:
	s_clause 0x2
	s_load_b128 s[4:7], s[0:1], 0x0
	s_load_b64 s[8:9], s[0:1], 0x50
	s_load_b64 s[10:11], s[0:1], 0x18
	v_mul_u32_u24_e32 v1, 0x169, v0
	v_mov_b32_e32 v3, 0
	s_delay_alu instid0(VALU_DEP_2) | instskip(NEXT) | instid1(VALU_DEP_1)
	v_lshrrev_b32_e32 v1, 16, v1
	v_add_nc_u32_e32 v5, ttmp9, v1
	v_mov_b32_e32 v1, 0
	v_mov_b32_e32 v2, 0
	;; [unrolled: 1-line block ×3, first 2 shown]
	s_wait_kmcnt 0x0
	v_cmp_lt_u64_e64 s2, s[6:7], 2
	s_delay_alu instid0(VALU_DEP_1)
	s_and_b32 vcc_lo, exec_lo, s2
	s_cbranch_vccnz .LBB0_8
; %bb.1:
	s_load_b64 s[2:3], s[0:1], 0x10
	v_mov_b32_e32 v1, 0
	v_mov_b32_e32 v2, 0
	s_add_nc_u64 s[12:13], s[10:11], 8
	s_mov_b64 s[14:15], 1
	s_wait_kmcnt 0x0
	s_add_nc_u64 s[16:17], s[2:3], 8
	s_mov_b32 s3, 0
.LBB0_2:                                ; =>This Inner Loop Header: Depth=1
	s_load_b64 s[18:19], s[16:17], 0x0
                                        ; implicit-def: $vgpr7_vgpr8
	s_mov_b32 s2, exec_lo
	s_wait_kmcnt 0x0
	v_or_b32_e32 v4, s19, v6
	s_delay_alu instid0(VALU_DEP_1)
	v_cmpx_ne_u64_e32 0, v[3:4]
	s_wait_alu 0xfffe
	s_xor_b32 s20, exec_lo, s2
	s_cbranch_execz .LBB0_4
; %bb.3:                                ;   in Loop: Header=BB0_2 Depth=1
	s_cvt_f32_u32 s2, s18
	s_cvt_f32_u32 s21, s19
	s_sub_nc_u64 s[24:25], 0, s[18:19]
	s_wait_alu 0xfffe
	s_delay_alu instid0(SALU_CYCLE_1) | instskip(SKIP_1) | instid1(SALU_CYCLE_2)
	s_fmamk_f32 s2, s21, 0x4f800000, s2
	s_wait_alu 0xfffe
	v_s_rcp_f32 s2, s2
	s_delay_alu instid0(TRANS32_DEP_1) | instskip(SKIP_1) | instid1(SALU_CYCLE_2)
	s_mul_f32 s2, s2, 0x5f7ffffc
	s_wait_alu 0xfffe
	s_mul_f32 s21, s2, 0x2f800000
	s_wait_alu 0xfffe
	s_delay_alu instid0(SALU_CYCLE_2) | instskip(SKIP_1) | instid1(SALU_CYCLE_2)
	s_trunc_f32 s21, s21
	s_wait_alu 0xfffe
	s_fmamk_f32 s2, s21, 0xcf800000, s2
	s_cvt_u32_f32 s23, s21
	s_wait_alu 0xfffe
	s_delay_alu instid0(SALU_CYCLE_1) | instskip(SKIP_1) | instid1(SALU_CYCLE_2)
	s_cvt_u32_f32 s22, s2
	s_wait_alu 0xfffe
	s_mul_u64 s[26:27], s[24:25], s[22:23]
	s_wait_alu 0xfffe
	s_mul_hi_u32 s29, s22, s27
	s_mul_i32 s28, s22, s27
	s_mul_hi_u32 s2, s22, s26
	s_mul_i32 s30, s23, s26
	s_wait_alu 0xfffe
	s_add_nc_u64 s[28:29], s[2:3], s[28:29]
	s_mul_hi_u32 s21, s23, s26
	s_mul_hi_u32 s31, s23, s27
	s_add_co_u32 s2, s28, s30
	s_wait_alu 0xfffe
	s_add_co_ci_u32 s2, s29, s21
	s_mul_i32 s26, s23, s27
	s_add_co_ci_u32 s27, s31, 0
	s_wait_alu 0xfffe
	s_add_nc_u64 s[26:27], s[2:3], s[26:27]
	s_wait_alu 0xfffe
	v_add_co_u32 v4, s2, s22, s26
	s_delay_alu instid0(VALU_DEP_1) | instskip(SKIP_1) | instid1(VALU_DEP_1)
	s_cmp_lg_u32 s2, 0
	s_add_co_ci_u32 s23, s23, s27
	v_readfirstlane_b32 s22, v4
	s_wait_alu 0xfffe
	s_delay_alu instid0(VALU_DEP_1)
	s_mul_u64 s[24:25], s[24:25], s[22:23]
	s_wait_alu 0xfffe
	s_mul_hi_u32 s27, s22, s25
	s_mul_i32 s26, s22, s25
	s_mul_hi_u32 s2, s22, s24
	s_mul_i32 s28, s23, s24
	s_wait_alu 0xfffe
	s_add_nc_u64 s[26:27], s[2:3], s[26:27]
	s_mul_hi_u32 s21, s23, s24
	s_mul_hi_u32 s22, s23, s25
	s_wait_alu 0xfffe
	s_add_co_u32 s2, s26, s28
	s_add_co_ci_u32 s2, s27, s21
	s_mul_i32 s24, s23, s25
	s_add_co_ci_u32 s25, s22, 0
	s_wait_alu 0xfffe
	s_add_nc_u64 s[24:25], s[2:3], s[24:25]
	s_wait_alu 0xfffe
	v_add_co_u32 v4, s2, v4, s24
	s_delay_alu instid0(VALU_DEP_1) | instskip(SKIP_1) | instid1(VALU_DEP_1)
	s_cmp_lg_u32 s2, 0
	s_add_co_ci_u32 s2, s23, s25
	v_mul_hi_u32 v13, v5, v4
	s_wait_alu 0xfffe
	v_mad_co_u64_u32 v[7:8], null, v5, s2, 0
	v_mad_co_u64_u32 v[9:10], null, v6, v4, 0
	;; [unrolled: 1-line block ×3, first 2 shown]
	s_delay_alu instid0(VALU_DEP_3) | instskip(SKIP_1) | instid1(VALU_DEP_4)
	v_add_co_u32 v4, vcc_lo, v13, v7
	s_wait_alu 0xfffd
	v_add_co_ci_u32_e32 v7, vcc_lo, 0, v8, vcc_lo
	s_delay_alu instid0(VALU_DEP_2) | instskip(SKIP_1) | instid1(VALU_DEP_2)
	v_add_co_u32 v4, vcc_lo, v4, v9
	s_wait_alu 0xfffd
	v_add_co_ci_u32_e32 v4, vcc_lo, v7, v10, vcc_lo
	s_wait_alu 0xfffd
	v_add_co_ci_u32_e32 v7, vcc_lo, 0, v12, vcc_lo
	s_delay_alu instid0(VALU_DEP_2) | instskip(SKIP_1) | instid1(VALU_DEP_2)
	v_add_co_u32 v4, vcc_lo, v4, v11
	s_wait_alu 0xfffd
	v_add_co_ci_u32_e32 v9, vcc_lo, 0, v7, vcc_lo
	s_delay_alu instid0(VALU_DEP_2) | instskip(SKIP_1) | instid1(VALU_DEP_3)
	v_mul_lo_u32 v10, s19, v4
	v_mad_co_u64_u32 v[7:8], null, s18, v4, 0
	v_mul_lo_u32 v11, s18, v9
	s_delay_alu instid0(VALU_DEP_2) | instskip(NEXT) | instid1(VALU_DEP_2)
	v_sub_co_u32 v7, vcc_lo, v5, v7
	v_add3_u32 v8, v8, v11, v10
	s_delay_alu instid0(VALU_DEP_1) | instskip(SKIP_1) | instid1(VALU_DEP_1)
	v_sub_nc_u32_e32 v10, v6, v8
	s_wait_alu 0xfffd
	v_subrev_co_ci_u32_e64 v10, s2, s19, v10, vcc_lo
	v_add_co_u32 v11, s2, v4, 2
	s_wait_alu 0xf1ff
	v_add_co_ci_u32_e64 v12, s2, 0, v9, s2
	v_sub_co_u32 v13, s2, v7, s18
	v_sub_co_ci_u32_e32 v8, vcc_lo, v6, v8, vcc_lo
	s_wait_alu 0xf1ff
	v_subrev_co_ci_u32_e64 v10, s2, 0, v10, s2
	s_delay_alu instid0(VALU_DEP_3) | instskip(NEXT) | instid1(VALU_DEP_3)
	v_cmp_le_u32_e32 vcc_lo, s18, v13
	v_cmp_eq_u32_e64 s2, s19, v8
	s_wait_alu 0xfffd
	v_cndmask_b32_e64 v13, 0, -1, vcc_lo
	v_cmp_le_u32_e32 vcc_lo, s19, v10
	s_wait_alu 0xfffd
	v_cndmask_b32_e64 v14, 0, -1, vcc_lo
	v_cmp_le_u32_e32 vcc_lo, s18, v7
	;; [unrolled: 3-line block ×3, first 2 shown]
	s_wait_alu 0xfffd
	v_cndmask_b32_e64 v15, 0, -1, vcc_lo
	v_cmp_eq_u32_e32 vcc_lo, s19, v10
	s_wait_alu 0xf1ff
	s_delay_alu instid0(VALU_DEP_2)
	v_cndmask_b32_e64 v7, v15, v7, s2
	s_wait_alu 0xfffd
	v_cndmask_b32_e32 v10, v14, v13, vcc_lo
	v_add_co_u32 v13, vcc_lo, v4, 1
	s_wait_alu 0xfffd
	v_add_co_ci_u32_e32 v14, vcc_lo, 0, v9, vcc_lo
	s_delay_alu instid0(VALU_DEP_3) | instskip(SKIP_2) | instid1(VALU_DEP_3)
	v_cmp_ne_u32_e32 vcc_lo, 0, v10
	s_wait_alu 0xfffd
	v_cndmask_b32_e32 v10, v13, v11, vcc_lo
	v_cndmask_b32_e32 v8, v14, v12, vcc_lo
	v_cmp_ne_u32_e32 vcc_lo, 0, v7
	s_wait_alu 0xfffd
	s_delay_alu instid0(VALU_DEP_2)
	v_dual_cndmask_b32 v7, v4, v10 :: v_dual_cndmask_b32 v8, v9, v8
.LBB0_4:                                ;   in Loop: Header=BB0_2 Depth=1
	s_wait_alu 0xfffe
	s_and_not1_saveexec_b32 s2, s20
	s_cbranch_execz .LBB0_6
; %bb.5:                                ;   in Loop: Header=BB0_2 Depth=1
	v_cvt_f32_u32_e32 v4, s18
	s_sub_co_i32 s20, 0, s18
	s_delay_alu instid0(VALU_DEP_1) | instskip(NEXT) | instid1(TRANS32_DEP_1)
	v_rcp_iflag_f32_e32 v4, v4
	v_mul_f32_e32 v4, 0x4f7ffffe, v4
	s_delay_alu instid0(VALU_DEP_1) | instskip(SKIP_1) | instid1(VALU_DEP_1)
	v_cvt_u32_f32_e32 v4, v4
	s_wait_alu 0xfffe
	v_mul_lo_u32 v7, s20, v4
	s_delay_alu instid0(VALU_DEP_1) | instskip(NEXT) | instid1(VALU_DEP_1)
	v_mul_hi_u32 v7, v4, v7
	v_add_nc_u32_e32 v4, v4, v7
	s_delay_alu instid0(VALU_DEP_1) | instskip(NEXT) | instid1(VALU_DEP_1)
	v_mul_hi_u32 v4, v5, v4
	v_mul_lo_u32 v7, v4, s18
	v_add_nc_u32_e32 v8, 1, v4
	s_delay_alu instid0(VALU_DEP_2) | instskip(NEXT) | instid1(VALU_DEP_1)
	v_sub_nc_u32_e32 v7, v5, v7
	v_subrev_nc_u32_e32 v9, s18, v7
	v_cmp_le_u32_e32 vcc_lo, s18, v7
	s_wait_alu 0xfffd
	s_delay_alu instid0(VALU_DEP_2) | instskip(NEXT) | instid1(VALU_DEP_1)
	v_dual_cndmask_b32 v7, v7, v9 :: v_dual_cndmask_b32 v4, v4, v8
	v_cmp_le_u32_e32 vcc_lo, s18, v7
	s_delay_alu instid0(VALU_DEP_2) | instskip(SKIP_1) | instid1(VALU_DEP_1)
	v_add_nc_u32_e32 v8, 1, v4
	s_wait_alu 0xfffd
	v_dual_cndmask_b32 v7, v4, v8 :: v_dual_mov_b32 v8, v3
.LBB0_6:                                ;   in Loop: Header=BB0_2 Depth=1
	s_wait_alu 0xfffe
	s_or_b32 exec_lo, exec_lo, s2
	s_load_b64 s[20:21], s[12:13], 0x0
	s_delay_alu instid0(VALU_DEP_1)
	v_mul_lo_u32 v4, v8, s18
	v_mul_lo_u32 v11, v7, s19
	v_mad_co_u64_u32 v[9:10], null, v7, s18, 0
	s_add_nc_u64 s[14:15], s[14:15], 1
	s_add_nc_u64 s[12:13], s[12:13], 8
	s_wait_alu 0xfffe
	v_cmp_ge_u64_e64 s2, s[14:15], s[6:7]
	s_add_nc_u64 s[16:17], s[16:17], 8
	s_delay_alu instid0(VALU_DEP_2) | instskip(NEXT) | instid1(VALU_DEP_3)
	v_add3_u32 v4, v10, v11, v4
	v_sub_co_u32 v5, vcc_lo, v5, v9
	s_wait_alu 0xfffd
	s_delay_alu instid0(VALU_DEP_2) | instskip(SKIP_3) | instid1(VALU_DEP_2)
	v_sub_co_ci_u32_e32 v4, vcc_lo, v6, v4, vcc_lo
	s_and_b32 vcc_lo, exec_lo, s2
	s_wait_kmcnt 0x0
	v_mul_lo_u32 v6, s21, v5
	v_mul_lo_u32 v4, s20, v4
	v_mad_co_u64_u32 v[1:2], null, s20, v5, v[1:2]
	s_delay_alu instid0(VALU_DEP_1)
	v_add3_u32 v2, v6, v2, v4
	s_wait_alu 0xfffe
	s_cbranch_vccnz .LBB0_9
; %bb.7:                                ;   in Loop: Header=BB0_2 Depth=1
	v_dual_mov_b32 v5, v7 :: v_dual_mov_b32 v6, v8
	s_branch .LBB0_2
.LBB0_8:
	v_dual_mov_b32 v8, v6 :: v_dual_mov_b32 v7, v5
.LBB0_9:
	s_lshl_b64 s[2:3], s[6:7], 3
	v_mul_hi_u32 v3, 0x1681682, v0
	s_wait_alu 0xfffe
	s_add_nc_u64 s[2:3], s[10:11], s[2:3]
	s_load_b64 s[2:3], s[2:3], 0x0
	s_load_b64 s[0:1], s[0:1], 0x20
	s_delay_alu instid0(VALU_DEP_1)
	v_mul_u32_u24_e32 v3, 0xb6, v3
	s_wait_kmcnt 0x0
	v_mul_lo_u32 v4, s2, v8
	v_mul_lo_u32 v5, s3, v7
	v_mad_co_u64_u32 v[1:2], null, s2, v7, v[1:2]
	v_cmp_gt_u64_e32 vcc_lo, s[0:1], v[7:8]
	s_delay_alu instid0(VALU_DEP_2) | instskip(SKIP_2) | instid1(VALU_DEP_3)
	v_add3_u32 v2, v5, v2, v4
	v_sub_nc_u32_e32 v4, v0, v3
	v_mov_b32_e32 v5, 0
	v_lshlrev_b64_e32 v[0:1], 4, v[1:2]
	s_delay_alu instid0(VALU_DEP_3)
	v_mov_b32_e32 v56, v4
	scratch_store_b64 off, v[0:1], off offset:8 ; 8-byte Folded Spill
	s_and_saveexec_b32 s1, vcc_lo
	s_cbranch_execz .LBB0_13
; %bb.10:
	scratch_load_b64 v[0:1], off, off offset:8 ; 8-byte Folded Reload
	v_lshlrev_b64_e32 v[2:3], 4, v[4:5]
	v_lshl_add_u32 v46, v4, 4, 0
	s_mov_b32 s2, exec_lo
	s_wait_loadcnt 0x0
	v_add_co_u32 v0, s0, s8, v0
	s_wait_alu 0xf1ff
	v_add_co_ci_u32_e64 v1, s0, s9, v1, s0
	s_delay_alu instid0(VALU_DEP_2) | instskip(SKIP_1) | instid1(VALU_DEP_2)
	v_add_co_u32 v2, s0, v0, v2
	s_wait_alu 0xf1ff
	v_add_co_ci_u32_e64 v3, s0, v1, v3, s0
	s_clause 0x9
	global_load_b128 v[6:9], v[2:3], off
	global_load_b128 v[10:13], v[2:3], off offset:2912
	global_load_b128 v[14:17], v[2:3], off offset:5824
	;; [unrolled: 1-line block ×9, first 2 shown]
	v_dual_mov_b32 v2, v4 :: v_dual_mov_b32 v3, v5
	s_wait_loadcnt 0x9
	ds_store_b128 v46, v[6:9]
	s_wait_loadcnt 0x8
	ds_store_b128 v46, v[10:13] offset:2912
	s_wait_loadcnt 0x7
	ds_store_b128 v46, v[14:17] offset:5824
	;; [unrolled: 2-line block ×9, first 2 shown]
	v_cmpx_eq_u32_e32 0xb5, v4
	s_cbranch_execz .LBB0_12
; %bb.11:
	global_load_b128 v[5:8], v[0:1], off offset:29120
	v_mov_b32_e32 v2, 0xb5
	v_dual_mov_b32 v0, 0 :: v_dual_mov_b32 v3, 0
	v_mov_b32_e32 v4, 0xb5
	s_wait_loadcnt 0x0
	ds_store_b128 v0, v[5:8] offset:29120
.LBB0_12:
	s_wait_alu 0xfffe
	s_or_b32 exec_lo, exec_lo, s2
	v_dual_mov_b32 v56, v4 :: v_dual_mov_b32 v5, v3
	v_mov_b32_e32 v4, v2
.LBB0_13:
	s_wait_alu 0xfffe
	s_or_b32 exec_lo, exec_lo, s1
	s_delay_alu instid0(VALU_DEP_2)
	v_lshlrev_b32_e32 v0, 4, v56
	global_wb scope:SCOPE_SE
	s_wait_storecnt_dscnt 0x0
	s_barrier_signal -1
	s_barrier_wait -1
	global_inv scope:SCOPE_SE
	v_add_nc_u32_e32 v252, 0, v0
	v_sub_nc_u32_e32 v10, 0, v0
	v_lshlrev_b64_e32 v[4:5], 4, v[4:5]
	s_mov_b32 s1, exec_lo
	ds_load_b64 v[6:7], v252
	ds_load_b64 v[8:9], v10 offset:29120
	scratch_store_b64 off, v[4:5], off      ; 8-byte Folded Spill
	s_wait_dscnt 0x0
	v_add_f64_e32 v[0:1], v[6:7], v[8:9]
	v_add_f64_e64 v[2:3], v[6:7], -v[8:9]
	v_cmpx_ne_u32_e32 0, v56
	s_wait_alu 0xfffe
	s_xor_b32 s1, exec_lo, s1
	s_cbranch_execz .LBB0_15
; %bb.14:
	scratch_load_b64 v[0:1], off, off       ; 8-byte Folded Reload
	v_add_f64_e32 v[13:14], v[6:7], v[8:9]
	v_add_f64_e64 v[8:9], v[6:7], -v[8:9]
	s_wait_loadcnt 0x0
	v_add_co_u32 v0, s0, s4, v0
	s_wait_alu 0xf1ff
	v_add_co_ci_u32_e64 v1, s0, s5, v1, s0
	global_load_b128 v[2:5], v[0:1], off offset:28960
	ds_load_b64 v[0:1], v10 offset:29128
	ds_load_b64 v[11:12], v252 offset:8
	s_wait_dscnt 0x0
	v_add_f64_e32 v[6:7], v[0:1], v[11:12]
	v_add_f64_e64 v[0:1], v[11:12], -v[0:1]
	s_wait_loadcnt 0x0
	v_fma_f64 v[11:12], v[8:9], v[4:5], v[13:14]
	v_fma_f64 v[13:14], -v[8:9], v[4:5], v[13:14]
	s_delay_alu instid0(VALU_DEP_3) | instskip(SKIP_1) | instid1(VALU_DEP_4)
	v_fma_f64 v[15:16], v[6:7], v[4:5], -v[0:1]
	v_fma_f64 v[17:18], v[6:7], v[4:5], v[0:1]
	v_fma_f64 v[0:1], -v[6:7], v[2:3], v[11:12]
	s_delay_alu instid0(VALU_DEP_4) | instskip(NEXT) | instid1(VALU_DEP_4)
	v_fma_f64 v[4:5], v[6:7], v[2:3], v[13:14]
	v_fma_f64 v[6:7], v[8:9], v[2:3], v[15:16]
	s_delay_alu instid0(VALU_DEP_4)
	v_fma_f64 v[2:3], v[8:9], v[2:3], v[17:18]
	ds_store_b128 v10, v[4:7] offset:29120
.LBB0_15:
	s_wait_alu 0xfffe
	s_and_not1_saveexec_b32 s0, s1
	s_cbranch_execz .LBB0_17
; %bb.16:
	v_mov_b32_e32 v8, 0
	ds_load_b128 v[4:7], v8 offset:14560
	s_wait_dscnt 0x0
	v_add_f64_e32 v[4:5], v[4:5], v[4:5]
	v_mul_f64_e32 v[6:7], -2.0, v[6:7]
	ds_store_b128 v8, v[4:7] offset:14560
.LBB0_17:
	s_wait_alu 0xfffe
	s_or_b32 exec_lo, exec_lo, s0
	v_mov_b32_e32 v57, 0
	s_add_nc_u64 s[0:1], s[4:5], 0x7120
	s_mov_b32 s6, 0x134454ff
	s_mov_b32 s7, 0xbfee6f0e
	;; [unrolled: 1-line block ×3, first 2 shown]
	v_lshlrev_b64_e32 v[4:5], 4, v[56:57]
	s_mov_b32 s13, 0xbfe2cf23
	s_mov_b32 s3, 0x3fe2cf23
	;; [unrolled: 1-line block ×5, first 2 shown]
	s_wait_alu 0xfffe
	v_add_co_u32 v23, s0, s0, v4
	s_wait_alu 0xf1ff
	v_add_co_ci_u32_e64 v24, s0, s1, v5, s0
	scratch_store_b64 off, v[4:5], off offset:16 ; 8-byte Folded Spill
	s_mov_b32 s1, 0x3fee6f0e
	s_mov_b32 s0, s6
	s_clause 0x1
	global_load_b128 v[4:7], v[23:24], off offset:2912
	global_load_b128 v[11:14], v[23:24], off offset:5824
	ds_store_b128 v252, v[0:3]
	ds_load_b128 v[0:3], v252 offset:2912
	ds_load_b128 v[15:18], v10 offset:26208
	global_load_b128 v[19:22], v[23:24], off offset:8736
	s_mov_b32 s14, 0x9b97f4a8
	s_mov_b32 s15, 0x3fe9e377
	;; [unrolled: 1-line block ×5, first 2 shown]
	s_wait_alu 0xfffe
	s_mov_b32 s18, s14
	s_wait_dscnt 0x0
	v_add_f64_e32 v[8:9], v[0:1], v[15:16]
	v_add_f64_e32 v[25:26], v[17:18], v[2:3]
	v_add_f64_e64 v[15:16], v[0:1], -v[15:16]
	v_add_f64_e64 v[0:1], v[2:3], -v[17:18]
	s_wait_loadcnt 0x2
	s_delay_alu instid0(VALU_DEP_2) | instskip(NEXT) | instid1(VALU_DEP_2)
	v_fma_f64 v[2:3], v[15:16], v[6:7], v[8:9]
	v_fma_f64 v[17:18], v[25:26], v[6:7], v[0:1]
	v_fma_f64 v[8:9], -v[15:16], v[6:7], v[8:9]
	v_fma_f64 v[27:28], v[25:26], v[6:7], -v[0:1]
	s_delay_alu instid0(VALU_DEP_4) | instskip(NEXT) | instid1(VALU_DEP_4)
	v_fma_f64 v[0:1], -v[25:26], v[4:5], v[2:3]
	v_fma_f64 v[2:3], v[15:16], v[4:5], v[17:18]
	s_delay_alu instid0(VALU_DEP_4) | instskip(NEXT) | instid1(VALU_DEP_4)
	v_fma_f64 v[6:7], v[25:26], v[4:5], v[8:9]
	v_fma_f64 v[8:9], v[15:16], v[4:5], v[27:28]
	ds_store_b128 v252, v[0:3] offset:2912
	ds_store_b128 v10, v[6:9] offset:26208
	ds_load_b128 v[0:3], v252 offset:5824
	ds_load_b128 v[4:7], v10 offset:23296
	global_load_b128 v[15:18], v[23:24], off offset:11648
	s_wait_dscnt 0x0
	v_add_f64_e32 v[8:9], v[0:1], v[4:5]
	v_add_f64_e32 v[23:24], v[6:7], v[2:3]
	v_add_f64_e64 v[25:26], v[0:1], -v[4:5]
	v_add_f64_e64 v[0:1], v[2:3], -v[6:7]
	s_wait_loadcnt 0x2
	s_delay_alu instid0(VALU_DEP_2) | instskip(NEXT) | instid1(VALU_DEP_2)
	v_fma_f64 v[2:3], v[25:26], v[13:14], v[8:9]
	v_fma_f64 v[4:5], v[23:24], v[13:14], v[0:1]
	v_fma_f64 v[6:7], -v[25:26], v[13:14], v[8:9]
	v_fma_f64 v[8:9], v[23:24], v[13:14], -v[0:1]
	s_delay_alu instid0(VALU_DEP_4) | instskip(NEXT) | instid1(VALU_DEP_4)
	v_fma_f64 v[0:1], -v[23:24], v[11:12], v[2:3]
	v_fma_f64 v[2:3], v[25:26], v[11:12], v[4:5]
	s_delay_alu instid0(VALU_DEP_4) | instskip(NEXT) | instid1(VALU_DEP_4)
	v_fma_f64 v[4:5], v[23:24], v[11:12], v[6:7]
	v_fma_f64 v[6:7], v[25:26], v[11:12], v[8:9]
	ds_store_b128 v252, v[0:3] offset:5824
	ds_store_b128 v10, v[4:7] offset:23296
	ds_load_b128 v[0:3], v252 offset:8736
	ds_load_b128 v[4:7], v10 offset:20384
	s_wait_dscnt 0x0
	v_add_f64_e32 v[8:9], v[0:1], v[4:5]
	v_add_f64_e32 v[11:12], v[6:7], v[2:3]
	v_add_f64_e64 v[13:14], v[0:1], -v[4:5]
	v_add_f64_e64 v[0:1], v[2:3], -v[6:7]
	s_wait_loadcnt 0x1
	s_delay_alu instid0(VALU_DEP_2) | instskip(NEXT) | instid1(VALU_DEP_2)
	v_fma_f64 v[2:3], v[13:14], v[21:22], v[8:9]
	v_fma_f64 v[4:5], v[11:12], v[21:22], v[0:1]
	v_fma_f64 v[6:7], -v[13:14], v[21:22], v[8:9]
	v_fma_f64 v[8:9], v[11:12], v[21:22], -v[0:1]
	s_delay_alu instid0(VALU_DEP_4) | instskip(NEXT) | instid1(VALU_DEP_4)
	v_fma_f64 v[0:1], -v[11:12], v[19:20], v[2:3]
	v_fma_f64 v[2:3], v[13:14], v[19:20], v[4:5]
	s_delay_alu instid0(VALU_DEP_4) | instskip(NEXT) | instid1(VALU_DEP_4)
	v_fma_f64 v[4:5], v[11:12], v[19:20], v[6:7]
	v_fma_f64 v[6:7], v[13:14], v[19:20], v[8:9]
	ds_store_b128 v252, v[0:3] offset:8736
	ds_store_b128 v10, v[4:7] offset:20384
	ds_load_b128 v[0:3], v252 offset:11648
	ds_load_b128 v[4:7], v10 offset:17472
	s_wait_dscnt 0x0
	v_add_f64_e32 v[8:9], v[0:1], v[4:5]
	v_add_f64_e32 v[11:12], v[6:7], v[2:3]
	v_add_f64_e64 v[13:14], v[0:1], -v[4:5]
	v_add_f64_e64 v[0:1], v[2:3], -v[6:7]
	s_wait_loadcnt 0x0
	s_delay_alu instid0(VALU_DEP_2) | instskip(NEXT) | instid1(VALU_DEP_2)
	v_fma_f64 v[2:3], v[13:14], v[17:18], v[8:9]
	v_fma_f64 v[4:5], v[11:12], v[17:18], v[0:1]
	v_fma_f64 v[6:7], -v[13:14], v[17:18], v[8:9]
	v_fma_f64 v[8:9], v[11:12], v[17:18], -v[0:1]
	s_delay_alu instid0(VALU_DEP_4) | instskip(NEXT) | instid1(VALU_DEP_4)
	v_fma_f64 v[0:1], -v[11:12], v[15:16], v[2:3]
	v_fma_f64 v[2:3], v[13:14], v[15:16], v[4:5]
	s_delay_alu instid0(VALU_DEP_4) | instskip(NEXT) | instid1(VALU_DEP_4)
	v_fma_f64 v[4:5], v[11:12], v[15:16], v[6:7]
	v_fma_f64 v[6:7], v[13:14], v[15:16], v[8:9]
	ds_store_b128 v252, v[0:3] offset:11648
	ds_store_b128 v10, v[4:7] offset:17472
	global_wb scope:SCOPE_SE
	s_wait_storecnt_dscnt 0x0
	s_barrier_signal -1
	s_barrier_wait -1
	global_inv scope:SCOPE_SE
	global_wb scope:SCOPE_SE
	s_barrier_signal -1
	s_barrier_wait -1
	global_inv scope:SCOPE_SE
	ds_load_b128 v[0:3], v252 offset:14560
	ds_load_b128 v[4:7], v252 offset:20384
	ds_load_b128 v[8:11], v252 offset:26208
	ds_load_b128 v[12:15], v252 offset:8736
	ds_load_b128 v[16:19], v252 offset:5824
	ds_load_b128 v[20:23], v252 offset:11648
	ds_load_b128 v[24:27], v252 offset:17472
	ds_load_b128 v[28:31], v252 offset:23296
	ds_load_b128 v[32:35], v252 offset:2912
	ds_load_b128 v[36:39], v252
	global_wb scope:SCOPE_SE
	s_wait_dscnt 0x0
	s_barrier_signal -1
	s_barrier_wait -1
	global_inv scope:SCOPE_SE
	v_add_f64_e32 v[40:41], v[2:3], v[6:7]
	v_add_f64_e32 v[44:45], v[0:1], v[4:5]
	;; [unrolled: 1-line block ×4, first 2 shown]
	v_add_f64_e64 v[48:49], v[12:13], -v[8:9]
	v_add_f64_e64 v[50:51], v[0:1], -v[4:5]
	;; [unrolled: 1-line block ×3, first 2 shown]
	v_add_f64_e32 v[54:55], v[20:21], v[24:25]
	v_add_f64_e32 v[64:65], v[16:17], v[28:29]
	;; [unrolled: 1-line block ×4, first 2 shown]
	v_add_f64_e64 v[70:71], v[12:13], -v[0:1]
	v_add_f64_e64 v[72:73], v[8:9], -v[4:5]
	;; [unrolled: 1-line block ×7, first 2 shown]
	v_add_f64_e32 v[90:91], v[36:37], v[16:17]
	v_add_f64_e64 v[92:93], v[18:19], -v[30:31]
	v_add_f64_e32 v[94:95], v[38:39], v[18:19]
	v_add_f64_e64 v[96:97], v[16:17], -v[28:29]
	;; [unrolled: 2-line block ×3, first 2 shown]
	v_add_f64_e64 v[100:101], v[20:21], -v[24:25]
	v_fma_f64 v[40:41], v[40:41], -0.5, v[34:35]
	v_fma_f64 v[44:45], v[44:45], -0.5, v[32:33]
	;; [unrolled: 1-line block ×4, first 2 shown]
	v_add_f64_e32 v[32:33], v[32:33], v[12:13]
	v_add_f64_e64 v[12:13], v[0:1], -v[12:13]
	v_add_f64_e64 v[34:35], v[4:5], -v[8:9]
	v_fma_f64 v[54:55], v[54:55], -0.5, v[36:37]
	v_fma_f64 v[36:37], v[64:65], -0.5, v[36:37]
	;; [unrolled: 1-line block ×4, first 2 shown]
	v_add_f64_e32 v[66:67], v[70:71], v[72:73]
	v_add_f64_e32 v[68:69], v[74:75], v[76:77]
	;; [unrolled: 1-line block ×3, first 2 shown]
	v_add_f64_e64 v[78:79], v[18:19], -v[22:23]
	v_add_f64_e64 v[18:19], v[22:23], -v[18:19]
	;; [unrolled: 1-line block ×3, first 2 shown]
	v_add_f64_e32 v[22:23], v[94:95], v[22:23]
	v_add_f64_e32 v[2:3], v[14:15], v[2:3]
	v_fma_f64 v[84:85], v[48:49], s[0:1], v[40:41]
	v_fma_f64 v[40:41], v[48:49], s[6:7], v[40:41]
	;; [unrolled: 1-line block ×8, first 2 shown]
	v_add_f64_e32 v[0:1], v[32:33], v[0:1]
	v_add_f64_e32 v[12:13], v[12:13], v[34:35]
	v_fma_f64 v[14:15], v[92:93], s[6:7], v[54:55]
	v_fma_f64 v[32:33], v[92:93], s[0:1], v[54:55]
	;; [unrolled: 1-line block ×6, first 2 shown]
	v_add_f64_e32 v[22:23], v[22:23], v[26:27]
	v_add_f64_e32 v[2:3], v[2:3], v[6:7]
	v_fma_f64 v[74:75], v[50:51], s[2:3], v[84:85]
	v_fma_f64 v[40:41], v[50:51], s[12:13], v[40:41]
	;; [unrolled: 1-line block ×5, first 2 shown]
	v_add_f64_e64 v[50:51], v[16:17], -v[20:21]
	v_add_f64_e64 v[16:17], v[20:21], -v[16:17]
	;; [unrolled: 1-line block ×5, first 2 shown]
	v_add_f64_e32 v[20:21], v[90:91], v[20:21]
	v_fma_f64 v[90:91], v[100:101], s[6:7], v[38:39]
	v_fma_f64 v[38:39], v[100:101], s[0:1], v[38:39]
	;; [unrolled: 1-line block ×5, first 2 shown]
	v_add_f64_e32 v[0:1], v[0:1], v[4:5]
	v_fma_f64 v[4:5], v[98:99], s[12:13], v[14:15]
	v_fma_f64 v[6:7], v[98:99], s[2:3], v[32:33]
	;; [unrolled: 1-line block ×5, first 2 shown]
	v_add_f64_e32 v[22:23], v[22:23], v[30:31]
	v_add_f64_e32 v[2:3], v[2:3], v[10:11]
	v_fma_f64 v[52:53], v[68:69], s[10:11], v[74:75]
	v_fma_f64 v[40:41], v[68:69], s[10:11], v[40:41]
	;; [unrolled: 1-line block ×5, first 2 shown]
	v_add_f64_e32 v[50:51], v[50:51], v[80:81]
	v_add_f64_e32 v[16:17], v[16:17], v[84:85]
	;; [unrolled: 1-line block ×5, first 2 shown]
	v_fma_f64 v[24:25], v[92:93], s[2:3], v[36:37]
	v_fma_f64 v[34:35], v[96:97], s[2:3], v[90:91]
	;; [unrolled: 1-line block ×6, first 2 shown]
	v_add_f64_e32 v[0:1], v[0:1], v[8:9]
	v_add_f64_e64 v[10:11], v[22:23], -v[2:3]
	v_mul_f64_e32 v[46:47], s[12:13], v[52:53]
	v_mul_f64_e32 v[66:67], s[12:13], v[40:41]
	;; [unrolled: 1-line block ×7, first 2 shown]
	s_wait_alu 0xfffe
	v_mul_f64_e32 v[40:41], s[18:19], v[40:41]
	v_fma_f64 v[4:5], v[50:51], s[10:11], v[4:5]
	v_fma_f64 v[6:7], v[50:51], s[10:11], v[6:7]
	v_add_f64_e32 v[20:21], v[20:21], v[28:29]
	v_fma_f64 v[14:15], v[16:17], s[10:11], v[14:15]
	v_fma_f64 v[50:51], v[16:17], s[10:11], v[24:25]
	;; [unrolled: 1-line block ×6, first 2 shown]
	v_add_f64_e32 v[18:19], v[22:23], v[2:3]
	v_fma_f64 v[24:25], v[48:49], s[14:15], v[46:47]
	v_fma_f64 v[46:47], v[44:45], s[10:11], v[54:55]
	;; [unrolled: 1-line block ×8, first 2 shown]
	v_cmp_gt_u32_e64 s0, 0x8c, v56
	v_add_f64_e32 v[16:17], v[20:21], v[0:1]
	v_add_f64_e64 v[8:9], v[20:21], -v[0:1]
	v_add_f64_e32 v[28:29], v[4:5], v[24:25]
	v_add_f64_e64 v[24:25], v[4:5], -v[24:25]
	v_add_f64_e32 v[36:37], v[14:15], v[46:47]
	v_add_f64_e32 v[32:33], v[50:51], v[48:49]
	;; [unrolled: 1-line block ×7, first 2 shown]
	v_add_f64_e64 v[20:21], v[14:15], -v[46:47]
	v_add_f64_e64 v[0:1], v[50:51], -v[48:49]
	;; [unrolled: 1-line block ×7, first 2 shown]
	v_mad_u32_u24 v12, 0x90, v56, v252
	ds_store_b128 v12, v[16:19]
	ds_store_b128 v12, v[28:31] offset:16
	ds_store_b128 v12, v[36:39] offset:32
	;; [unrolled: 1-line block ×9, first 2 shown]
	global_wb scope:SCOPE_SE
	s_wait_dscnt 0x0
	s_barrier_signal -1
	s_barrier_wait -1
	global_inv scope:SCOPE_SE
                                        ; implicit-def: $vgpr50_vgpr51
                                        ; implicit-def: $vgpr46_vgpr47
                                        ; implicit-def: $vgpr14_vgpr15
	s_and_saveexec_b32 s1, s0
	s_cbranch_execz .LBB0_19
; %bb.18:
	ds_load_b128 v[16:19], v252
	ds_load_b128 v[28:31], v252 offset:2240
	ds_load_b128 v[36:39], v252 offset:4480
	;; [unrolled: 1-line block ×12, first 2 shown]
.LBB0_19:
	s_wait_alu 0xfffe
	s_or_b32 exec_lo, exec_lo, s1
	v_and_b32_e32 v52, 0xff, v56
	s_mov_b32 s36, 0x4267c47c
	s_mov_b32 s37, 0xbfddbe06
	;; [unrolled: 1-line block ×4, first 2 shown]
	v_mul_lo_u16 v52, 0xcd, v52
	s_mov_b32 s11, 0x3fec55a7
	s_mov_b32 s7, 0xbfea55e2
	;; [unrolled: 1-line block ×4, first 2 shown]
	v_lshrrev_b16 v57, 11, v52
	s_mov_b32 s14, 0x66966769
	s_mov_b32 s15, 0xbfefc445
	;; [unrolled: 1-line block ×4, first 2 shown]
	v_mul_lo_u16 v52, v57, 10
	s_mov_b32 s18, 0x2ef20147
	s_mov_b32 s19, 0xbfedeba7
	;; [unrolled: 1-line block ×4, first 2 shown]
	v_sub_nc_u16 v52, v56, v52
	s_mov_b32 s22, 0x24c2f84
	s_mov_b32 s23, 0xbfe5384d
	;; [unrolled: 1-line block ×4, first 2 shown]
	v_and_b32_e32 v253, 0xff, v52
	s_mov_b32 s26, 0x4bc48dbf
	s_mov_b32 s27, 0xbfcea1e5
	;; [unrolled: 1-line block ×4, first 2 shown]
	v_mul_u32_u24_e32 v52, 12, v253
	s_mov_b32 s35, 0x3fe5384d
	s_wait_alu 0xfffe
	s_mov_b32 s34, s22
	s_mov_b32 s31, 0x3fefc445
	s_mov_b32 s30, s14
	v_lshlrev_b32_e32 v58, 4, v52
	s_mov_b32 s29, 0x3fddbe06
	s_mov_b32 s28, s36
	;; [unrolled: 1-line block ×4, first 2 shown]
	s_clause 0x1
	global_load_b128 v[52:55], v58, s[4:5]
	global_load_b128 v[64:67], v58, s[4:5] offset:16
	s_mov_b32 s39, 0x3fcea1e5
	s_mov_b32 s38, s26
	;; [unrolled: 1-line block ×4, first 2 shown]
	s_wait_loadcnt_dscnt 0x10b
	v_mul_f64_e32 v[68:69], v[30:31], v[54:55]
	s_delay_alu instid0(VALU_DEP_1) | instskip(SKIP_1) | instid1(VALU_DEP_1)
	v_fma_f64 v[84:85], v[28:29], v[52:53], v[68:69]
	v_mul_f64_e32 v[28:29], v[28:29], v[54:55]
	v_fma_f64 v[86:87], v[30:31], v[52:53], -v[28:29]
	s_wait_loadcnt_dscnt 0xa
	v_mul_f64_e32 v[28:29], v[38:39], v[66:67]
	v_mul_f64_e32 v[30:31], v[36:37], v[66:67]
	s_delay_alu instid0(VALU_DEP_2) | instskip(NEXT) | instid1(VALU_DEP_2)
	v_fma_f64 v[28:29], v[36:37], v[64:65], v[28:29]
	v_fma_f64 v[30:31], v[38:39], v[64:65], -v[30:31]
	s_clause 0x1
	global_load_b128 v[52:55], v58, s[4:5] offset:32
	global_load_b128 v[64:67], v58, s[4:5] offset:48
	s_wait_loadcnt_dscnt 0x109
	v_mul_f64_e32 v[36:37], v[34:35], v[54:55]
	s_wait_loadcnt_dscnt 0x8
	v_mul_f64_e32 v[38:39], v[40:41], v[66:67]
	s_delay_alu instid0(VALU_DEP_2) | instskip(SKIP_1) | instid1(VALU_DEP_3)
	v_fma_f64 v[36:37], v[32:33], v[52:53], v[36:37]
	v_mul_f64_e32 v[32:33], v[32:33], v[54:55]
	v_fma_f64 v[38:39], v[42:43], v[64:65], -v[38:39]
	s_delay_alu instid0(VALU_DEP_2) | instskip(SKIP_1) | instid1(VALU_DEP_1)
	v_fma_f64 v[32:33], v[34:35], v[52:53], -v[32:33]
	v_mul_f64_e32 v[34:35], v[42:43], v[66:67]
	v_fma_f64 v[34:35], v[40:41], v[64:65], v[34:35]
	s_clause 0x1
	global_load_b128 v[52:55], v58, s[4:5] offset:64
	global_load_b128 v[64:67], v58, s[4:5] offset:80
	s_wait_loadcnt_dscnt 0x107
	v_mul_f64_e32 v[40:41], v[10:11], v[54:55]
	s_delay_alu instid0(VALU_DEP_1) | instskip(SKIP_1) | instid1(VALU_DEP_1)
	v_fma_f64 v[40:41], v[8:9], v[52:53], v[40:41]
	v_mul_f64_e32 v[8:9], v[8:9], v[54:55]
	v_fma_f64 v[42:43], v[10:11], v[52:53], -v[8:9]
	s_clause 0x1
	global_load_b128 v[8:11], v58, s[4:5] offset:176
	global_load_b128 v[70:73], v58, s[4:5] offset:160
	s_wait_loadcnt_dscnt 0x100
	v_mul_f64_e32 v[52:53], v[50:51], v[10:11]
	v_mul_f64_e32 v[10:11], v[48:49], v[10:11]
	s_delay_alu instid0(VALU_DEP_2) | instskip(NEXT) | instid1(VALU_DEP_2)
	v_fma_f64 v[52:53], v[48:49], v[8:9], v[52:53]
	v_fma_f64 v[48:49], v[50:51], v[8:9], -v[10:11]
	v_mul_f64_e32 v[8:9], v[26:27], v[66:67]
	s_delay_alu instid0(VALU_DEP_3) | instskip(NEXT) | instid1(VALU_DEP_3)
	v_add_f64_e32 v[126:127], v[84:85], v[52:53]
	v_add_f64_e32 v[214:215], v[86:87], v[48:49]
	s_delay_alu instid0(VALU_DEP_3) | instskip(SKIP_2) | instid1(VALU_DEP_4)
	v_fma_f64 v[50:51], v[24:25], v[64:65], v[8:9]
	v_mul_f64_e32 v[8:9], v[24:25], v[66:67]
	v_add_f64_e64 v[194:195], v[84:85], -v[52:53]
	v_mul_f64_e32 v[186:187], s[10:11], v[214:215]
	v_mul_f64_e32 v[216:217], s[2:3], v[214:215]
	s_delay_alu instid0(VALU_DEP_4)
	v_fma_f64 v[54:55], v[26:27], v[64:65], -v[8:9]
	s_clause 0x1
	global_load_b128 v[8:11], v58, s[4:5] offset:96
	global_load_b128 v[24:27], v58, s[4:5] offset:112
	v_mul_f64_e32 v[226:227], s[12:13], v[214:215]
	v_mul_f64_e32 v[236:237], s[16:17], v[214:215]
	;; [unrolled: 1-line block ×4, first 2 shown]
	s_wait_loadcnt 0x1
	v_mul_f64_e32 v[64:65], v[22:23], v[10:11]
	v_mul_f64_e32 v[10:11], v[20:21], v[10:11]
	s_delay_alu instid0(VALU_DEP_2) | instskip(NEXT) | instid1(VALU_DEP_2)
	v_fma_f64 v[66:67], v[20:21], v[8:9], v[64:65]
	v_fma_f64 v[68:69], v[22:23], v[8:9], -v[10:11]
	v_mul_f64_e32 v[8:9], v[44:45], v[72:73]
	s_delay_alu instid0(VALU_DEP_3) | instskip(NEXT) | instid1(VALU_DEP_3)
	v_add_f64_e32 v[118:119], v[50:51], v[66:67]
	v_add_f64_e64 v[60:61], v[54:55], -v[68:69]
	s_delay_alu instid0(VALU_DEP_3)
	v_fma_f64 v[64:65], v[46:47], v[70:71], -v[8:9]
	v_mul_f64_e32 v[8:9], v[46:47], v[72:73]
	v_add_f64_e32 v[62:63], v[54:55], v[68:69]
	v_add_f64_e64 v[122:123], v[50:51], -v[66:67]
	v_mul_f64_e32 v[116:117], s[26:27], v[60:61]
	v_add_f64_e32 v[218:219], v[30:31], v[64:65]
	v_fma_f64 v[44:45], v[44:45], v[70:71], v[8:9]
	s_wait_loadcnt 0x0
	v_mul_f64_e32 v[8:9], v[2:3], v[26:27]
	v_mul_f64_e32 v[120:121], s[24:25], v[62:63]
	;; [unrolled: 1-line block ×9, first 2 shown]
	v_add_f64_e32 v[82:83], v[28:29], v[44:45]
	v_fma_f64 v[46:47], v[0:1], v[24:25], v[8:9]
	v_mul_f64_e32 v[0:1], v[0:1], v[26:27]
	v_add_f64_e64 v[90:91], v[28:29], -v[44:45]
	v_mul_f64_e32 v[132:133], s[16:17], v[218:219]
	v_mul_f64_e32 v[150:151], s[24:25], v[218:219]
	;; [unrolled: 1-line block ×6, first 2 shown]
	v_add_f64_e32 v[110:111], v[40:41], v[46:47]
	v_fma_f64 v[70:71], v[2:3], v[24:25], -v[0:1]
	s_clause 0x1
	global_load_b128 v[0:3], v58, s[4:5] offset:128
	global_load_b128 v[8:11], v58, s[4:5] offset:144
	v_add_f64_e64 v[114:115], v[40:41], -v[46:47]
	global_wb scope:SCOPE_SE
	s_wait_loadcnt 0x0
	v_fma_f64 v[24:25], v[90:91], s[34:35], v[174:175]
	v_fma_f64 v[188:189], v[90:91], s[30:31], v[202:203]
	v_fma_f64 v[214:215], v[90:91], s[28:29], v[242:243]
	s_barrier_signal -1
	s_barrier_wait -1
	global_inv scope:SCOPE_SE
	v_add_f64_e64 v[254:255], v[42:43], -v[70:71]
	v_add_f64_e32 v[58:59], v[42:43], v[70:71]
	s_delay_alu instid0(VALU_DEP_2) | instskip(NEXT) | instid1(VALU_DEP_2)
	v_mul_f64_e32 v[108:109], s[22:23], v[254:255]
	v_mul_f64_e32 v[112:113], s[20:21], v[58:59]
	;; [unrolled: 1-line block ×12, first 2 shown]
	s_delay_alu instid0(VALU_DEP_2) | instskip(NEXT) | instid1(VALU_DEP_2)
	v_fma_f64 v[72:73], v[4:5], v[0:1], v[20:21]
	v_fma_f64 v[74:75], v[6:7], v[0:1], -v[2:3]
	v_mul_f64_e32 v[0:1], v[12:13], v[10:11]
	v_fma_f64 v[4:5], v[90:91], s[6:7], v[88:89]
	v_fma_f64 v[20:21], v[90:91], s[26:27], v[150:151]
	v_add_f64_e32 v[102:103], v[34:35], v[72:73]
	v_add_f64_e64 v[228:229], v[38:39], -v[74:75]
	v_fma_f64 v[76:77], v[14:15], v[8:9], -v[0:1]
	v_mul_f64_e32 v[0:1], v[14:15], v[10:11]
	v_add_f64_e64 v[10:11], v[30:31], -v[64:65]
	v_add_f64_e32 v[230:231], v[38:39], v[74:75]
	v_add_f64_e64 v[106:107], v[34:35], -v[72:73]
	v_mul_f64_e32 v[100:101], s[18:19], v[228:229]
	v_add_f64_e64 v[220:221], v[32:33], -v[76:77]
	v_fma_f64 v[78:79], v[12:13], v[8:9], v[0:1]
	v_add_f64_e64 v[8:9], v[86:87], -v[48:49]
	v_mul_f64_e32 v[80:81], s[6:7], v[10:11]
	v_add_f64_e32 v[222:223], v[32:33], v[76:77]
	v_mul_f64_e32 v[104:105], s[16:17], v[230:231]
	v_mul_f64_e32 v[128:129], s[18:19], v[10:11]
	v_fma_f64 v[12:13], v[90:91], s[18:19], v[132:133]
	v_mul_f64_e32 v[134:135], s[34:35], v[228:229]
	v_mul_f64_e32 v[144:145], s[20:21], v[230:231]
	;; [unrolled: 1-line block ×15, first 2 shown]
	v_add_f64_e32 v[94:95], v[36:37], v[78:79]
	v_mul_f64_e32 v[124:125], s[36:37], v[8:9]
	v_fma_f64 v[2:3], v[82:83], s[2:3], -v[80:81]
	v_add_f64_e64 v[98:99], v[36:37], -v[78:79]
	v_mul_f64_e32 v[96:97], s[12:13], v[222:223]
	v_mul_f64_e32 v[212:213], s[6:7], v[8:9]
	v_fma_f64 v[6:7], v[82:83], s[16:17], -v[128:129]
	v_mul_f64_e32 v[130:131], s[26:27], v[220:221]
	v_mul_f64_e32 v[138:139], s[24:25], v[222:223]
	v_mul_f64_e32 v[224:225], s[14:15], v[8:9]
	v_fma_f64 v[14:15], v[82:83], s[24:25], -v[136:137]
	v_mul_f64_e32 v[146:147], s[40:41], v[220:221]
	;; [unrolled: 4-line block ×4, first 2 shown]
	v_mul_f64_e32 v[248:249], s[26:27], v[8:9]
	v_fma_f64 v[10:11], v[82:83], s[10:11], -v[238:239]
	v_mul_f64_e32 v[240:241], s[20:21], v[222:223]
	v_mul_f64_e32 v[222:223], s[16:17], v[58:59]
	v_fma_f64 v[0:1], v[126:127], s[10:11], -v[124:125]
	v_fma_f64 v[8:9], v[126:127], s[24:25], -v[248:249]
	s_delay_alu instid0(VALU_DEP_3) | instskip(NEXT) | instid1(VALU_DEP_3)
	v_fma_f64 v[58:59], v[114:115], s[18:19], v[222:223]
	v_add_f64_e32 v[0:1], v[16:17], v[0:1]
	s_delay_alu instid0(VALU_DEP_3) | instskip(NEXT) | instid1(VALU_DEP_2)
	v_add_f64_e32 v[8:9], v[16:17], v[8:9]
	v_add_f64_e32 v[0:1], v[2:3], v[0:1]
	v_fma_f64 v[2:3], v[194:195], s[36:37], v[186:187]
	s_delay_alu instid0(VALU_DEP_3) | instskip(SKIP_1) | instid1(VALU_DEP_3)
	v_add_f64_e32 v[8:9], v[10:11], v[8:9]
	v_fma_f64 v[10:11], v[194:195], s[26:27], v[250:251]
	v_add_f64_e32 v[2:3], v[18:19], v[2:3]
	s_delay_alu instid0(VALU_DEP_2) | instskip(NEXT) | instid1(VALU_DEP_2)
	v_add_f64_e32 v[10:11], v[18:19], v[10:11]
	v_add_f64_e32 v[2:3], v[4:5], v[2:3]
	v_fma_f64 v[4:5], v[94:95], s[12:13], -v[92:93]
	s_delay_alu instid0(VALU_DEP_3) | instskip(NEXT) | instid1(VALU_DEP_2)
	v_add_f64_e32 v[10:11], v[214:215], v[10:11]
	v_add_f64_e32 v[0:1], v[4:5], v[0:1]
	v_fma_f64 v[4:5], v[98:99], s[14:15], v[96:97]
	s_delay_alu instid0(VALU_DEP_1) | instskip(SKIP_1) | instid1(VALU_DEP_1)
	v_add_f64_e32 v[2:3], v[4:5], v[2:3]
	v_fma_f64 v[4:5], v[102:103], s[16:17], -v[100:101]
	v_add_f64_e32 v[0:1], v[4:5], v[0:1]
	v_fma_f64 v[4:5], v[106:107], s[18:19], v[104:105]
	s_delay_alu instid0(VALU_DEP_1) | instskip(SKIP_1) | instid1(VALU_DEP_1)
	v_add_f64_e32 v[2:3], v[4:5], v[2:3]
	v_fma_f64 v[4:5], v[110:111], s[20:21], -v[108:109]
	v_add_f64_e32 v[0:1], v[4:5], v[0:1]
	v_fma_f64 v[4:5], v[114:115], s[22:23], v[112:113]
	s_delay_alu instid0(VALU_DEP_1) | instskip(SKIP_1) | instid1(VALU_DEP_1)
	v_add_f64_e32 v[2:3], v[4:5], v[2:3]
	v_fma_f64 v[4:5], v[118:119], s[24:25], -v[116:117]
	v_add_f64_e32 v[0:1], v[4:5], v[0:1]
	v_fma_f64 v[4:5], v[122:123], s[26:27], v[120:121]
	s_delay_alu instid0(VALU_DEP_1) | instskip(SKIP_1) | instid1(VALU_DEP_1)
	v_add_f64_e32 v[2:3], v[4:5], v[2:3]
	v_fma_f64 v[4:5], v[126:127], s[2:3], -v[212:213]
	v_add_f64_e32 v[4:5], v[16:17], v[4:5]
	s_delay_alu instid0(VALU_DEP_1) | instskip(SKIP_1) | instid1(VALU_DEP_1)
	v_add_f64_e32 v[4:5], v[6:7], v[4:5]
	v_fma_f64 v[6:7], v[194:195], s[6:7], v[216:217]
	v_add_f64_e32 v[6:7], v[18:19], v[6:7]
	s_delay_alu instid0(VALU_DEP_1) | instskip(SKIP_1) | instid1(VALU_DEP_1)
	v_add_f64_e32 v[6:7], v[12:13], v[6:7]
	v_fma_f64 v[12:13], v[94:95], s[24:25], -v[130:131]
	v_add_f64_e32 v[4:5], v[12:13], v[4:5]
	v_fma_f64 v[12:13], v[98:99], s[26:27], v[138:139]
	s_delay_alu instid0(VALU_DEP_1) | instskip(SKIP_1) | instid1(VALU_DEP_1)
	v_add_f64_e32 v[6:7], v[12:13], v[6:7]
	v_fma_f64 v[12:13], v[102:103], s[20:21], -v[134:135]
	v_add_f64_e32 v[4:5], v[12:13], v[4:5]
	v_fma_f64 v[12:13], v[106:107], s[34:35], v[144:145]
	s_delay_alu instid0(VALU_DEP_1) | instskip(SKIP_1) | instid1(VALU_DEP_1)
	v_add_f64_e32 v[6:7], v[12:13], v[6:7]
	v_fma_f64 v[12:13], v[110:111], s[12:13], -v[140:141]
	v_add_f64_e32 v[4:5], v[12:13], v[4:5]
	v_fma_f64 v[12:13], v[114:115], s[30:31], v[152:153]
	s_delay_alu instid0(VALU_DEP_1) | instskip(SKIP_1) | instid1(VALU_DEP_1)
	v_add_f64_e32 v[6:7], v[12:13], v[6:7]
	v_fma_f64 v[12:13], v[118:119], s[10:11], -v[142:143]
	v_add_f64_e32 v[4:5], v[12:13], v[4:5]
	v_fma_f64 v[12:13], v[122:123], s[28:29], v[160:161]
	s_delay_alu instid0(VALU_DEP_1) | instskip(SKIP_1) | instid1(VALU_DEP_1)
	v_add_f64_e32 v[6:7], v[12:13], v[6:7]
	v_fma_f64 v[12:13], v[126:127], s[12:13], -v[224:225]
	v_add_f64_e32 v[12:13], v[16:17], v[12:13]
	s_delay_alu instid0(VALU_DEP_1) | instskip(SKIP_1) | instid1(VALU_DEP_1)
	v_add_f64_e32 v[12:13], v[14:15], v[12:13]
	v_fma_f64 v[14:15], v[194:195], s[14:15], v[226:227]
	v_add_f64_e32 v[14:15], v[18:19], v[14:15]
	s_delay_alu instid0(VALU_DEP_1) | instskip(SKIP_1) | instid1(VALU_DEP_1)
	v_add_f64_e32 v[14:15], v[20:21], v[14:15]
	v_fma_f64 v[20:21], v[94:95], s[16:17], -v[146:147]
	;; [unrolled: 28-line block ×3, first 2 shown]
	v_add_f64_e32 v[20:21], v[24:25], v[20:21]
	v_fma_f64 v[24:25], v[98:99], s[28:29], v[180:181]
	s_delay_alu instid0(VALU_DEP_1) | instskip(SKIP_1) | instid1(VALU_DEP_1)
	v_add_f64_e32 v[22:23], v[24:25], v[22:23]
	v_fma_f64 v[24:25], v[102:103], s[12:13], -v[170:171]
	v_add_f64_e32 v[20:21], v[24:25], v[20:21]
	v_fma_f64 v[24:25], v[106:107], s[14:15], v[184:185]
	s_delay_alu instid0(VALU_DEP_1) | instskip(SKIP_1) | instid1(VALU_DEP_1)
	v_add_f64_e32 v[22:23], v[24:25], v[22:23]
	v_fma_f64 v[24:25], v[110:111], s[24:25], -v[176:177]
	;; [unrolled: 5-line block ×4, first 2 shown]
	v_add_f64_e32 v[24:25], v[16:17], v[24:25]
	s_delay_alu instid0(VALU_DEP_1) | instskip(SKIP_1) | instid1(VALU_DEP_1)
	v_add_f64_e32 v[24:25], v[26:27], v[24:25]
	v_fma_f64 v[26:27], v[194:195], s[22:23], v[246:247]
	v_add_f64_e32 v[26:27], v[18:19], v[26:27]
	s_delay_alu instid0(VALU_DEP_1) | instskip(SKIP_1) | instid1(VALU_DEP_1)
	v_add_f64_e32 v[26:27], v[188:189], v[26:27]
	v_mul_f64_e32 v[188:189], s[6:7], v[220:221]
	v_fma_f64 v[192:193], v[94:95], s[2:3], -v[188:189]
	s_delay_alu instid0(VALU_DEP_1) | instskip(SKIP_1) | instid1(VALU_DEP_1)
	v_add_f64_e32 v[24:25], v[192:193], v[24:25]
	v_fma_f64 v[192:193], v[98:99], s[6:7], v[204:205]
	v_add_f64_e32 v[26:27], v[192:193], v[26:27]
	v_fma_f64 v[192:193], v[102:103], s[24:25], -v[198:199]
	s_delay_alu instid0(VALU_DEP_1) | instskip(SKIP_1) | instid1(VALU_DEP_1)
	v_add_f64_e32 v[24:25], v[192:193], v[24:25]
	v_fma_f64 v[192:193], v[106:107], s[38:39], v[206:207]
	v_add_f64_e32 v[26:27], v[192:193], v[26:27]
	;; [unrolled: 5-line block ×3, first 2 shown]
	v_mul_f64_e32 v[192:193], s[18:19], v[60:61]
	s_delay_alu instid0(VALU_DEP_1) | instskip(NEXT) | instid1(VALU_DEP_1)
	v_fma_f64 v[208:209], v[118:119], s[16:17], -v[192:193]
	v_add_f64_e32 v[24:25], v[208:209], v[24:25]
	v_mul_f64_e32 v[208:209], s[16:17], v[62:63]
	s_delay_alu instid0(VALU_DEP_1) | instskip(NEXT) | instid1(VALU_DEP_1)
	v_fma_f64 v[234:235], v[122:123], s[18:19], v[208:209]
	v_add_f64_e32 v[26:27], v[234:235], v[26:27]
	v_mul_f64_e32 v[234:235], s[22:23], v[220:221]
	v_mul_f64_e32 v[220:221], s[18:19], v[254:255]
	s_delay_alu instid0(VALU_DEP_2) | instskip(NEXT) | instid1(VALU_DEP_1)
	v_fma_f64 v[214:215], v[94:95], s[20:21], -v[234:235]
	v_add_f64_e32 v[8:9], v[214:215], v[8:9]
	v_fma_f64 v[214:215], v[98:99], s[22:23], v[240:241]
	s_delay_alu instid0(VALU_DEP_1) | instskip(SKIP_1) | instid1(VALU_DEP_1)
	v_add_f64_e32 v[10:11], v[214:215], v[10:11]
	v_fma_f64 v[214:215], v[102:103], s[2:3], -v[228:229]
	v_add_f64_e32 v[8:9], v[214:215], v[8:9]
	v_fma_f64 v[214:215], v[106:107], s[42:43], v[230:231]
	s_delay_alu instid0(VALU_DEP_1) | instskip(SKIP_1) | instid1(VALU_DEP_2)
	v_add_f64_e32 v[10:11], v[214:215], v[10:11]
	v_fma_f64 v[214:215], v[110:111], s[16:17], -v[220:221]
	v_add_f64_e32 v[10:11], v[58:59], v[10:11]
	s_delay_alu instid0(VALU_DEP_2) | instskip(SKIP_1) | instid1(VALU_DEP_1)
	v_add_f64_e32 v[8:9], v[214:215], v[8:9]
	v_mul_f64_e32 v[214:215], s[30:31], v[60:61]
	v_fma_f64 v[58:59], v[118:119], s[12:13], -v[214:215]
	s_delay_alu instid0(VALU_DEP_1) | instskip(SKIP_1) | instid1(VALU_DEP_1)
	v_add_f64_e32 v[8:9], v[58:59], v[8:9]
	v_fma_f64 v[58:59], v[122:123], s[30:31], v[218:219]
	v_add_f64_e32 v[10:11], v[58:59], v[10:11]
	s_and_saveexec_b32 s1, s0
	s_cbranch_execz .LBB0_21
; %bb.20:
	v_mul_f64_e32 v[62:63], s[22:23], v[194:195]
	v_mul_f64_e32 v[58:59], s[26:27], v[194:195]
	;; [unrolled: 1-line block ×3, first 2 shown]
	s_delay_alu instid0(VALU_DEP_3) | instskip(SKIP_1) | instid1(VALU_DEP_4)
	v_add_f64_e64 v[62:63], v[246:247], -v[62:63]
	v_mul_f64_e32 v[246:247], s[18:19], v[194:195]
	v_add_f64_e64 v[58:59], v[250:251], -v[58:59]
	s_delay_alu instid0(VALU_DEP_4) | instskip(NEXT) | instid1(VALU_DEP_4)
	v_add_f64_e32 v[60:61], v[60:61], v[248:249]
	v_add_f64_e32 v[62:63], v[18:19], v[62:63]
	s_delay_alu instid0(VALU_DEP_4) | instskip(SKIP_3) | instid1(VALU_DEP_4)
	v_add_f64_e64 v[236:237], v[236:237], -v[246:247]
	v_mul_f64_e32 v[246:247], s[16:17], v[126:127]
	v_add_f64_e32 v[58:59], v[18:19], v[58:59]
	v_add_f64_e32 v[60:61], v[16:17], v[60:61]
	;; [unrolled: 1-line block ×3, first 2 shown]
	s_delay_alu instid0(VALU_DEP_4) | instskip(SKIP_1) | instid1(VALU_DEP_1)
	v_add_f64_e32 v[232:233], v[246:247], v[232:233]
	v_mul_f64_e32 v[246:247], s[14:15], v[194:195]
	v_add_f64_e64 v[226:227], v[226:227], -v[246:247]
	v_mul_f64_e32 v[246:247], s[12:13], v[126:127]
	s_delay_alu instid0(VALU_DEP_1) | instskip(SKIP_2) | instid1(VALU_DEP_2)
	v_add_f64_e32 v[224:225], v[246:247], v[224:225]
	v_mul_f64_e32 v[246:247], s[6:7], v[194:195]
	v_mul_f64_e32 v[194:195], s[36:37], v[194:195]
	v_add_f64_e64 v[216:217], v[216:217], -v[246:247]
	v_mul_f64_e32 v[246:247], s[2:3], v[126:127]
	s_delay_alu instid0(VALU_DEP_3) | instskip(SKIP_1) | instid1(VALU_DEP_3)
	v_add_f64_e64 v[186:187], v[186:187], -v[194:195]
	v_add_f64_e32 v[194:195], v[18:19], v[86:87]
	v_add_f64_e32 v[212:213], v[246:247], v[212:213]
	v_mul_f64_e32 v[246:247], s[20:21], v[126:127]
	v_mul_f64_e32 v[126:127], s[10:11], v[126:127]
	v_add_f64_e32 v[186:187], v[18:19], v[186:187]
	v_add_f64_e32 v[30:31], v[194:195], v[30:31]
	;; [unrolled: 1-line block ×10, first 2 shown]
	v_mul_f64_e32 v[18:19], s[10:11], v[82:83]
	v_mul_f64_e32 v[232:233], s[20:21], v[94:95]
	v_add_f64_e32 v[30:31], v[30:31], v[32:33]
	v_and_b32_e32 v32, 0xffff, v57
	v_lshlrev_b32_e32 v33, 4, v253
	s_delay_alu instid0(VALU_DEP_2) | instskip(NEXT) | instid1(VALU_DEP_1)
	v_mul_u32_u24_e32 v32, 0x820, v32
	v_add3_u32 v32, 0, v32, v33
	v_add_f64_e32 v[224:225], v[16:17], v[244:245]
	v_add_f64_e32 v[226:227], v[16:17], v[124:125]
	v_mul_f64_e32 v[16:17], s[28:29], v[90:91]
	v_mul_f64_e32 v[124:125], s[22:23], v[98:99]
	v_add_f64_e32 v[28:29], v[246:247], v[28:29]
	v_add_f64_e32 v[18:19], v[18:19], v[238:239]
	;; [unrolled: 1-line block ×3, first 2 shown]
	v_mul_f64_e32 v[234:235], s[42:43], v[106:107]
	v_add_f64_e32 v[30:31], v[30:31], v[38:39]
	v_add_f64_e64 v[16:17], v[242:243], -v[16:17]
	v_add_f64_e64 v[124:125], v[240:241], -v[124:125]
	v_add_f64_e32 v[28:29], v[28:29], v[36:37]
	v_add_f64_e32 v[18:19], v[18:19], v[60:61]
	v_mul_f64_e32 v[60:61], s[30:31], v[122:123]
	v_add_f64_e64 v[230:231], v[230:231], -v[234:235]
	v_mul_f64_e32 v[234:235], s[2:3], v[102:103]
	v_add_f64_e32 v[30:31], v[30:31], v[42:43]
	v_add_f64_e32 v[16:17], v[16:17], v[58:59]
	v_mul_f64_e32 v[58:59], s[16:17], v[110:111]
	v_add_f64_e32 v[28:29], v[28:29], v[34:35]
	v_add_f64_e32 v[18:19], v[232:233], v[18:19]
	v_add_f64_e64 v[60:61], v[218:219], -v[60:61]
	v_add_f64_e32 v[228:229], v[234:235], v[228:229]
	v_mul_f64_e32 v[234:235], s[18:19], v[114:115]
	v_add_f64_e32 v[30:31], v[30:31], v[54:55]
	v_add_f64_e32 v[16:17], v[124:125], v[16:17]
	;; [unrolled: 1-line block ×3, first 2 shown]
	v_mul_f64_e32 v[124:125], s[12:13], v[118:119]
	v_add_f64_e32 v[28:29], v[28:29], v[40:41]
	v_add_f64_e32 v[18:19], v[228:229], v[18:19]
	v_add_f64_e64 v[222:223], v[222:223], -v[234:235]
	v_add_f64_e32 v[30:31], v[30:31], v[68:69]
	v_add_f64_e32 v[16:17], v[230:231], v[16:17]
	;; [unrolled: 1-line block ×7, first 2 shown]
	s_delay_alu instid0(VALU_DEP_4) | instskip(NEXT) | instid1(VALU_DEP_3)
	v_add_f64_e32 v[28:29], v[28:29], v[66:67]
	v_add_f64_e32 v[30:31], v[30:31], v[74:75]
	s_delay_alu instid0(VALU_DEP_3)
	v_add_f64_e32 v[18:19], v[60:61], v[16:17]
	v_add_f64_e32 v[16:17], v[124:125], v[58:59]
	v_mul_f64_e32 v[58:59], s[18:19], v[90:91]
	v_mul_f64_e32 v[60:61], s[16:17], v[82:83]
	;; [unrolled: 1-line block ×3, first 2 shown]
	v_add_f64_e32 v[28:29], v[28:29], v[46:47]
	v_add_f64_e32 v[30:31], v[30:31], v[76:77]
	v_add_f64_e64 v[58:59], v[132:133], -v[58:59]
	v_add_f64_e32 v[60:61], v[60:61], v[128:129]
	v_mul_f64_e32 v[128:129], s[24:25], v[94:95]
	v_add_f64_e64 v[124:125], v[138:139], -v[124:125]
	v_mul_f64_e32 v[132:133], s[20:21], v[102:103]
	v_mul_f64_e32 v[138:139], s[24:25], v[110:111]
	v_add_f64_e32 v[28:29], v[28:29], v[72:73]
	v_add_f64_e32 v[30:31], v[30:31], v[64:65]
	;; [unrolled: 1-line block ×5, first 2 shown]
	v_mul_f64_e32 v[130:131], s[34:35], v[106:107]
	v_add_f64_e32 v[132:133], v[132:133], v[134:135]
	v_mul_f64_e32 v[134:135], s[30:31], v[114:115]
	v_mul_f64_e32 v[84:85], s[12:13], v[110:111]
	;; [unrolled: 1-line block ×3, first 2 shown]
	v_add_f64_e32 v[138:139], v[138:139], v[176:177]
	v_add_f64_e32 v[28:29], v[28:29], v[78:79]
	v_add_f64_e32 v[30:31], v[30:31], v[48:49]
	v_add_f64_e32 v[58:59], v[124:125], v[58:59]
	v_mul_f64_e32 v[124:125], s[10:11], v[118:119]
	v_add_f64_e32 v[60:61], v[128:129], v[60:61]
	v_add_f64_e64 v[130:131], v[144:145], -v[130:131]
	v_mul_f64_e32 v[128:129], s[16:17], v[94:95]
	v_add_f64_e64 v[134:135], v[152:153], -v[134:135]
	v_add_f64_e32 v[84:85], v[84:85], v[140:141]
	v_add_f64_e64 v[86:87], v[160:161], -v[86:87]
	v_mul_f64_e32 v[140:141], s[28:29], v[114:115]
	v_add_f64_e32 v[28:29], v[28:29], v[44:45]
	v_add_f64_e32 v[124:125], v[124:125], v[142:143]
	;; [unrolled: 1-line block ×5, first 2 shown]
	v_mul_f64_e32 v[130:131], s[28:29], v[106:107]
	v_mul_f64_e32 v[132:133], s[10:11], v[102:103]
	v_add_f64_e64 v[140:141], v[210:211], -v[140:141]
	v_add_f64_e32 v[28:29], v[28:29], v[52:53]
	v_add_f64_e32 v[60:61], v[84:85], v[60:61]
	;; [unrolled: 1-line block ×3, first 2 shown]
	v_mul_f64_e32 v[134:135], s[6:7], v[114:115]
	v_add_f64_e64 v[130:131], v[166:167], -v[130:131]
	v_add_f64_e32 v[132:133], v[132:133], v[156:157]
	v_add_f64_e32 v[84:85], v[124:125], v[60:61]
	;; [unrolled: 1-line block ×3, first 2 shown]
	v_mul_f64_e32 v[58:59], s[26:27], v[90:91]
	v_mul_f64_e32 v[60:61], s[24:25], v[82:83]
	;; [unrolled: 1-line block ×3, first 2 shown]
	v_add_f64_e64 v[134:135], v[172:173], -v[134:135]
	s_delay_alu instid0(VALU_DEP_4) | instskip(NEXT) | instid1(VALU_DEP_4)
	v_add_f64_e64 v[58:59], v[150:151], -v[58:59]
	v_add_f64_e32 v[60:61], v[60:61], v[136:137]
	s_delay_alu instid0(VALU_DEP_4) | instskip(SKIP_1) | instid1(VALU_DEP_4)
	v_add_f64_e64 v[124:125], v[162:163], -v[124:125]
	v_mul_f64_e32 v[136:137], s[38:39], v[114:115]
	v_add_f64_e32 v[58:59], v[58:59], v[126:127]
	s_delay_alu instid0(VALU_DEP_4) | instskip(SKIP_1) | instid1(VALU_DEP_4)
	v_add_f64_e32 v[60:61], v[60:61], v[212:213]
	v_mul_f64_e32 v[126:127], s[2:3], v[110:111]
	v_add_f64_e64 v[136:137], v[190:191], -v[136:137]
	s_delay_alu instid0(VALU_DEP_4) | instskip(NEXT) | instid1(VALU_DEP_4)
	v_add_f64_e32 v[58:59], v[124:125], v[58:59]
	v_add_f64_e32 v[60:61], v[128:129], v[60:61]
	s_delay_alu instid0(VALU_DEP_4)
	v_add_f64_e32 v[126:127], v[126:127], v[158:159]
	v_mul_f64_e32 v[124:125], s[22:23], v[122:123]
	v_mul_f64_e32 v[128:129], s[20:21], v[118:119]
	v_add_f64_e32 v[58:59], v[130:131], v[58:59]
	v_add_f64_e32 v[60:61], v[132:133], v[60:61]
	v_mul_f64_e32 v[130:131], s[10:11], v[94:95]
	v_add_f64_e64 v[124:125], v[168:169], -v[124:125]
	v_add_f64_e32 v[128:129], v[128:129], v[148:149]
	v_mul_f64_e32 v[132:133], s[14:15], v[106:107]
	v_add_f64_e32 v[58:59], v[134:135], v[58:59]
	v_add_f64_e32 v[60:61], v[126:127], v[60:61]
	;; [unrolled: 1-line block ×3, first 2 shown]
	v_mul_f64_e32 v[134:135], s[12:13], v[102:103]
	v_add_f64_e64 v[132:133], v[184:185], -v[132:133]
	v_add_f64_e32 v[126:127], v[124:125], v[58:59]
	v_add_f64_e32 v[124:125], v[128:129], v[60:61]
	v_mul_f64_e32 v[58:59], s[34:35], v[90:91]
	v_mul_f64_e32 v[60:61], s[20:21], v[82:83]
	;; [unrolled: 1-line block ×3, first 2 shown]
	v_add_f64_e32 v[134:135], v[134:135], v[170:171]
	s_delay_alu instid0(VALU_DEP_4) | instskip(NEXT) | instid1(VALU_DEP_4)
	v_add_f64_e64 v[58:59], v[174:175], -v[58:59]
	v_add_f64_e32 v[60:61], v[60:61], v[154:155]
	s_delay_alu instid0(VALU_DEP_4) | instskip(NEXT) | instid1(VALU_DEP_3)
	v_add_f64_e64 v[128:129], v[180:181], -v[128:129]
	v_add_f64_e32 v[58:59], v[58:59], v[236:237]
	s_delay_alu instid0(VALU_DEP_3) | instskip(NEXT) | instid1(VALU_DEP_2)
	v_add_f64_e32 v[60:61], v[60:61], v[216:217]
	v_add_f64_e32 v[58:59], v[128:129], v[58:59]
	s_delay_alu instid0(VALU_DEP_2) | instskip(SKIP_2) | instid1(VALU_DEP_4)
	v_add_f64_e32 v[60:61], v[130:131], v[60:61]
	v_mul_f64_e32 v[128:129], s[42:43], v[122:123]
	v_mul_f64_e32 v[130:131], s[2:3], v[118:119]
	v_add_f64_e32 v[58:59], v[132:133], v[58:59]
	s_delay_alu instid0(VALU_DEP_4) | instskip(NEXT) | instid1(VALU_DEP_4)
	v_add_f64_e32 v[60:61], v[134:135], v[60:61]
	v_add_f64_e64 v[128:129], v[196:197], -v[128:129]
	s_delay_alu instid0(VALU_DEP_4)
	v_add_f64_e32 v[132:133], v[130:131], v[178:179]
	v_mul_f64_e32 v[134:135], s[2:3], v[94:95]
	v_add_f64_e32 v[58:59], v[136:137], v[58:59]
	v_add_f64_e32 v[60:61], v[138:139], v[60:61]
	v_mul_f64_e32 v[136:137], s[38:39], v[106:107]
	v_mul_f64_e32 v[138:139], s[24:25], v[102:103]
	v_add_f64_e32 v[134:135], v[134:135], v[188:189]
	v_add_f64_e32 v[130:131], v[128:129], v[58:59]
	v_add_f64_e32 v[128:129], v[132:133], v[60:61]
	v_mul_f64_e32 v[58:59], s[30:31], v[90:91]
	v_mul_f64_e32 v[60:61], s[12:13], v[82:83]
	v_mul_f64_e32 v[132:133], s[6:7], v[98:99]
	v_add_f64_e64 v[136:137], v[206:207], -v[136:137]
	v_add_f64_e32 v[138:139], v[138:139], v[198:199]
	v_add_f64_e64 v[58:59], v[202:203], -v[58:59]
	v_add_f64_e32 v[60:61], v[60:61], v[182:183]
	v_add_f64_e64 v[132:133], v[204:205], -v[132:133]
	s_delay_alu instid0(VALU_DEP_3) | instskip(NEXT) | instid1(VALU_DEP_3)
	v_add_f64_e32 v[58:59], v[58:59], v[62:63]
	v_add_f64_e32 v[60:61], v[60:61], v[224:225]
	v_mul_f64_e32 v[62:63], s[10:11], v[110:111]
	s_delay_alu instid0(VALU_DEP_3) | instskip(NEXT) | instid1(VALU_DEP_3)
	v_add_f64_e32 v[58:59], v[132:133], v[58:59]
	v_add_f64_e32 v[60:61], v[134:135], v[60:61]
	s_delay_alu instid0(VALU_DEP_3) | instskip(SKIP_4) | instid1(VALU_DEP_4)
	v_add_f64_e32 v[62:63], v[62:63], v[200:201]
	v_mul_f64_e32 v[132:133], s[18:19], v[122:123]
	v_mul_f64_e32 v[134:135], s[16:17], v[118:119]
	v_add_f64_e32 v[58:59], v[136:137], v[58:59]
	v_add_f64_e32 v[60:61], v[138:139], v[60:61]
	v_add_f64_e64 v[132:133], v[208:209], -v[132:133]
	s_delay_alu instid0(VALU_DEP_4) | instskip(NEXT) | instid1(VALU_DEP_4)
	v_add_f64_e32 v[136:137], v[134:135], v[192:193]
	v_add_f64_e32 v[58:59], v[140:141], v[58:59]
	s_delay_alu instid0(VALU_DEP_4) | instskip(SKIP_1) | instid1(VALU_DEP_3)
	v_add_f64_e32 v[60:61], v[62:63], v[60:61]
	v_mul_f64_e32 v[62:63], s[14:15], v[98:99]
	v_add_f64_e32 v[134:135], v[132:133], v[58:59]
	s_delay_alu instid0(VALU_DEP_3)
	v_add_f64_e32 v[132:133], v[136:137], v[60:61]
	v_mul_f64_e32 v[58:59], s[6:7], v[90:91]
	v_mul_f64_e32 v[60:61], s[2:3], v[82:83]
	v_add_f64_e64 v[62:63], v[96:97], -v[62:63]
	v_mul_f64_e32 v[82:83], s[18:19], v[106:107]
	v_mul_f64_e32 v[90:91], s[22:23], v[114:115]
	v_add_f64_e64 v[58:59], v[88:89], -v[58:59]
	v_add_f64_e32 v[60:61], v[60:61], v[80:81]
	v_mul_f64_e32 v[80:81], s[12:13], v[94:95]
	v_mul_f64_e32 v[88:89], s[16:17], v[102:103]
	v_add_f64_e64 v[82:83], v[104:105], -v[82:83]
	v_add_f64_e64 v[90:91], v[112:113], -v[90:91]
	v_add_f64_e32 v[58:59], v[58:59], v[186:187]
	v_add_f64_e32 v[60:61], v[60:61], v[226:227]
	;; [unrolled: 1-line block ×4, first 2 shown]
	v_mul_f64_e32 v[92:93], s[20:21], v[110:111]
	v_add_f64_e32 v[58:59], v[62:63], v[58:59]
	v_mul_f64_e32 v[62:63], s[26:27], v[122:123]
	v_add_f64_e32 v[60:61], v[80:81], v[60:61]
	;; [unrolled: 2-line block ×3, first 2 shown]
	v_add_f64_e32 v[58:59], v[82:83], v[58:59]
	v_add_f64_e64 v[62:63], v[120:121], -v[62:63]
	v_add_f64_e32 v[60:61], v[88:89], v[60:61]
	v_add_f64_e32 v[80:81], v[80:81], v[116:117]
	s_delay_alu instid0(VALU_DEP_4) | instskip(NEXT) | instid1(VALU_DEP_3)
	v_add_f64_e32 v[58:59], v[90:91], v[58:59]
	v_add_f64_e32 v[60:61], v[92:93], v[60:61]
	s_delay_alu instid0(VALU_DEP_2) | instskip(NEXT) | instid1(VALU_DEP_2)
	v_add_f64_e32 v[82:83], v[62:63], v[58:59]
	v_add_f64_e32 v[80:81], v[80:81], v[60:61]
	ds_store_b128 v32, v[84:87] offset:320
	ds_store_b128 v32, v[124:127] offset:480
	;; [unrolled: 1-line block ×11, first 2 shown]
	ds_store_b128 v32, v[28:31]
	ds_store_b128 v32, v[0:3] offset:1920
.LBB0_21:
	s_wait_alu 0xfffe
	s_or_b32 exec_lo, exec_lo, s1
	global_wb scope:SCOPE_SE
	s_wait_dscnt 0x0
	s_barrier_signal -1
	s_barrier_wait -1
	global_inv scope:SCOPE_SE
	ds_load_b128 v[28:31], v252
	ds_load_b128 v[48:51], v252 offset:4160
	ds_load_b128 v[44:47], v252 offset:8320
	;; [unrolled: 1-line block ×6, first 2 shown]
	v_cmp_gt_u32_e64 s0, 0x4e, v56
                                        ; implicit-def: $vgpr18_vgpr19
	s_delay_alu instid0(VALU_DEP_1)
	s_and_saveexec_b32 s1, s0
	s_cbranch_execz .LBB0_23
; %bb.22:
	ds_load_b128 v[8:11], v252 offset:2912
	ds_load_b128 v[24:27], v252 offset:7072
	ds_load_b128 v[20:23], v252 offset:11232
	ds_load_b128 v[12:15], v252 offset:15392
	ds_load_b128 v[4:7], v252 offset:19552
	ds_load_b128 v[0:3], v252 offset:23712
	ds_load_b128 v[16:19], v252 offset:27872
.LBB0_23:
	s_wait_alu 0xfffe
	s_or_b32 exec_lo, exec_lo, s1
	v_dual_mov_b32 v58, 0 :: v_dual_add_nc_u32 v57, 0xffffff7e, v56
	v_cmp_gt_u32_e64 s1, 0x82, v56
	s_mov_b32 s6, 0x37e14327
	s_mov_b32 s10, 0xe976ee23
	s_mov_b32 s7, 0x3fe948f6
	s_mov_b32 s11, 0x3fe11646
	s_wait_alu 0xf1ff
	v_cndmask_b32_e64 v94, v57, v56, s1
	s_mov_b32 s2, 0x429ad128
	s_mov_b32 s3, 0xbfebfeb5
	;; [unrolled: 1-line block ×4, first 2 shown]
	v_mul_i32_i24_e32 v57, 6, v94
	s_mov_b32 s12, 0xaaaaaaaa
	s_mov_b32 s20, 0xb247c609
	;; [unrolled: 1-line block ×4, first 2 shown]
	v_lshlrev_b64_e32 v[57:58], 4, v[57:58]
	s_mov_b32 s21, 0xbfd5d0dc
	s_mov_b32 s15, 0x3fe77f67
	;; [unrolled: 1-line block ×4, first 2 shown]
	s_wait_alu 0xfffe
	s_mov_b32 s18, s14
	v_add_co_u32 v57, s1, s4, v57
	s_wait_alu 0xf1ff
	v_add_co_ci_u32_e64 v58, s1, s5, v58, s1
	s_mov_b32 s22, s20
	s_clause 0x5
	global_load_b128 v[64:67], v[57:58], off offset:1920
	global_load_b128 v[68:71], v[57:58], off offset:1936
	;; [unrolled: 1-line block ×6, first 2 shown]
	s_mov_b32 s24, 0x37c3f68c
	s_mov_b32 s25, 0xbfdc38aa
	v_cmp_lt_u32_e64 s1, 0x81, v56
	global_wb scope:SCOPE_SE
	s_wait_loadcnt_dscnt 0x0
	s_barrier_signal -1
	s_barrier_wait -1
	global_inv scope:SCOPE_SE
	v_mul_f64_e32 v[57:58], v[50:51], v[66:67]
	v_mul_f64_e32 v[59:60], v[48:49], v[66:67]
	;; [unrolled: 1-line block ×12, first 2 shown]
	v_fma_f64 v[48:49], v[48:49], v[64:65], v[57:58]
	v_fma_f64 v[50:51], v[50:51], v[64:65], -v[59:60]
	v_fma_f64 v[44:45], v[44:45], v[68:69], v[61:62]
	v_fma_f64 v[46:47], v[46:47], v[68:69], -v[66:67]
	;; [unrolled: 2-line block ×6, first 2 shown]
	v_add_f64_e32 v[57:58], v[48:49], v[52:53]
	v_add_f64_e32 v[59:60], v[50:51], v[54:55]
	v_add_f64_e32 v[61:62], v[44:45], v[40:41]
	v_add_f64_e32 v[63:64], v[46:47], v[42:43]
	v_add_f64_e64 v[40:41], v[44:45], -v[40:41]
	v_add_f64_e64 v[42:43], v[46:47], -v[42:43]
	v_add_f64_e32 v[44:45], v[36:37], v[32:33]
	v_add_f64_e32 v[46:47], v[38:39], v[34:35]
	v_add_f64_e64 v[32:33], v[32:33], -v[36:37]
	v_add_f64_e64 v[34:35], v[34:35], -v[38:39]
	;; [unrolled: 1-line block ×4, first 2 shown]
	v_add_f64_e32 v[48:49], v[61:62], v[57:58]
	v_add_f64_e32 v[50:51], v[63:64], v[59:60]
	v_add_f64_e64 v[52:53], v[57:58], -v[44:45]
	v_add_f64_e64 v[54:55], v[59:60], -v[46:47]
	;; [unrolled: 1-line block ×6, first 2 shown]
	v_add_f64_e32 v[40:41], v[32:33], v[40:41]
	v_add_f64_e32 v[42:43], v[34:35], v[42:43]
	v_add_f64_e64 v[32:33], v[36:37], -v[32:33]
	v_add_f64_e64 v[34:35], v[38:39], -v[34:35]
	;; [unrolled: 1-line block ×4, first 2 shown]
	v_add_f64_e32 v[48:49], v[44:45], v[48:49]
	v_add_f64_e32 v[50:51], v[46:47], v[50:51]
	v_add_f64_e64 v[44:45], v[44:45], -v[61:62]
	v_add_f64_e64 v[46:47], v[46:47], -v[63:64]
	v_mul_f64_e32 v[52:53], s[6:7], v[52:53]
	v_mul_f64_e32 v[54:55], s[6:7], v[54:55]
	;; [unrolled: 1-line block ×6, first 2 shown]
	v_add_f64_e32 v[36:37], v[40:41], v[36:37]
	v_add_f64_e32 v[38:39], v[42:43], v[38:39]
	;; [unrolled: 1-line block ×4, first 2 shown]
	v_mul_f64_e32 v[61:62], s[16:17], v[44:45]
	v_mul_f64_e32 v[63:64], s[16:17], v[46:47]
	v_fma_f64 v[40:41], v[44:45], s[16:17], v[52:53]
	v_fma_f64 v[42:43], v[46:47], s[16:17], v[54:55]
	;; [unrolled: 1-line block ×4, first 2 shown]
	v_fma_f64 v[65:66], v[69:70], s[2:3], -v[65:66]
	v_fma_f64 v[67:68], v[71:72], s[2:3], -v[67:68]
	s_wait_alu 0xfffe
	v_fma_f64 v[32:33], v[32:33], s[22:23], -v[73:74]
	v_fma_f64 v[34:35], v[34:35], s[22:23], -v[75:76]
	v_fma_f64 v[52:53], v[57:58], s[18:19], -v[52:53]
	v_fma_f64 v[54:55], v[59:60], s[18:19], -v[54:55]
	v_fma_f64 v[48:49], v[48:49], s[12:13], v[28:29]
	v_fma_f64 v[50:51], v[50:51], s[12:13], v[30:31]
	v_fma_f64 v[57:58], v[57:58], s[14:15], -v[61:62]
	v_fma_f64 v[59:60], v[59:60], s[14:15], -v[63:64]
	v_fma_f64 v[61:62], v[36:37], s[24:25], v[44:45]
	v_fma_f64 v[63:64], v[38:39], s[24:25], v[46:47]
	;; [unrolled: 1-line block ×6, first 2 shown]
	v_add_f64_e32 v[69:70], v[40:41], v[48:49]
	v_add_f64_e32 v[71:72], v[42:43], v[50:51]
	;; [unrolled: 1-line block ×6, first 2 shown]
	s_wait_alu 0xf1ff
	v_cndmask_b32_e64 v57, 0, 0x38e0, s1
	v_lshlrev_b32_e32 v58, 4, v94
	s_delay_alu instid0(VALU_DEP_1)
	v_add3_u32 v57, 0, v57, v58
	v_add_f64_e32 v[32:33], v[63:64], v[69:70]
	v_add_f64_e64 v[34:35], v[71:72], -v[61:62]
	v_add_f64_e32 v[36:37], v[67:68], v[52:53]
	v_add_f64_e64 v[38:39], v[54:55], -v[65:66]
	v_add_f64_e64 v[40:41], v[48:49], -v[44:45]
	v_add_f64_e32 v[42:43], v[46:47], v[50:51]
	v_add_f64_e32 v[44:45], v[44:45], v[48:49]
	v_add_f64_e64 v[46:47], v[50:51], -v[46:47]
	v_add_f64_e64 v[48:49], v[52:53], -v[67:68]
	v_add_f64_e32 v[50:51], v[65:66], v[54:55]
	v_add_f64_e64 v[52:53], v[69:70], -v[63:64]
	v_add_f64_e32 v[54:55], v[61:62], v[71:72]
	ds_store_b128 v57, v[28:31]
	ds_store_b128 v57, v[32:35] offset:2080
	ds_store_b128 v57, v[36:39] offset:4160
	;; [unrolled: 1-line block ×6, first 2 shown]
	s_and_saveexec_b32 s1, s0
	s_cbranch_execz .LBB0_25
; %bb.24:
	v_add_nc_u32_e32 v28, 0xb6, v56
	s_delay_alu instid0(VALU_DEP_1) | instskip(NEXT) | instid1(VALU_DEP_1)
	v_and_b32_e32 v29, 0xffff, v28
	v_mul_u32_u24_e32 v29, 0xfc1, v29
	s_delay_alu instid0(VALU_DEP_1) | instskip(NEXT) | instid1(VALU_DEP_1)
	v_lshrrev_b32_e32 v29, 19, v29
	v_mul_lo_u16 v29, 0x82, v29
	s_delay_alu instid0(VALU_DEP_1) | instskip(NEXT) | instid1(VALU_DEP_1)
	v_sub_nc_u16 v28, v28, v29
	v_and_b32_e32 v65, 0xffff, v28
	s_delay_alu instid0(VALU_DEP_1) | instskip(NEXT) | instid1(VALU_DEP_1)
	v_mul_u32_u24_e32 v28, 6, v65
	v_lshlrev_b32_e32 v48, 4, v28
	s_clause 0x5
	global_load_b128 v[28:31], v48, s[4:5] offset:1936
	global_load_b128 v[32:35], v48, s[4:5] offset:1984
	global_load_b128 v[36:39], v48, s[4:5] offset:1920
	global_load_b128 v[40:43], v48, s[4:5] offset:2000
	global_load_b128 v[44:47], v48, s[4:5] offset:1968
	global_load_b128 v[48:51], v48, s[4:5] offset:1952
	s_wait_loadcnt 0x5
	v_mul_f64_e32 v[52:53], v[20:21], v[30:31]
	s_wait_loadcnt 0x4
	v_mul_f64_e32 v[54:55], v[0:1], v[34:35]
	;; [unrolled: 2-line block ×4, first 2 shown]
	v_mul_f64_e32 v[30:31], v[22:23], v[30:31]
	v_mul_f64_e32 v[34:35], v[2:3], v[34:35]
	;; [unrolled: 1-line block ×4, first 2 shown]
	s_wait_loadcnt 0x1
	v_mul_f64_e32 v[61:62], v[6:7], v[46:47]
	s_wait_loadcnt 0x0
	v_mul_f64_e32 v[63:64], v[14:15], v[50:51]
	v_mul_f64_e32 v[50:51], v[12:13], v[50:51]
	;; [unrolled: 1-line block ×3, first 2 shown]
	v_fma_f64 v[22:23], v[22:23], v[28:29], -v[52:53]
	v_fma_f64 v[2:3], v[2:3], v[32:33], -v[54:55]
	;; [unrolled: 1-line block ×4, first 2 shown]
	v_fma_f64 v[20:21], v[20:21], v[28:29], v[30:31]
	v_fma_f64 v[0:1], v[0:1], v[32:33], v[34:35]
	;; [unrolled: 1-line block ×6, first 2 shown]
	v_fma_f64 v[14:15], v[14:15], v[48:49], -v[50:51]
	v_fma_f64 v[6:7], v[6:7], v[44:45], -v[46:47]
	v_add_f64_e32 v[28:29], v[22:23], v[2:3]
	v_add_f64_e64 v[2:3], v[22:23], -v[2:3]
	v_add_f64_e32 v[30:31], v[26:27], v[18:19]
	v_add_f64_e32 v[32:33], v[20:21], v[0:1]
	v_add_f64_e64 v[0:1], v[20:21], -v[0:1]
	v_add_f64_e32 v[34:35], v[24:25], v[16:17]
	v_add_f64_e64 v[36:37], v[4:5], -v[12:13]
	v_add_f64_e32 v[4:5], v[12:13], v[4:5]
	v_add_f64_e32 v[20:21], v[14:15], v[6:7]
	v_add_f64_e64 v[12:13], v[24:25], -v[16:17]
	v_add_f64_e64 v[6:7], v[6:7], -v[14:15]
	;; [unrolled: 1-line block ×3, first 2 shown]
	v_add_f64_e32 v[16:17], v[28:29], v[30:31]
	v_add_f64_e32 v[18:19], v[32:33], v[34:35]
	v_add_f64_e64 v[22:23], v[36:37], -v[0:1]
	v_add_f64_e64 v[26:27], v[34:35], -v[4:5]
	v_add_f64_e64 v[24:25], v[30:31], -v[20:21]
	v_add_f64_e64 v[38:39], v[0:1], -v[12:13]
	v_add_f64_e64 v[40:41], v[6:7], -v[2:3]
	v_add_f64_e64 v[42:43], v[2:3], -v[14:15]
	v_add_f64_e32 v[44:45], v[36:37], v[0:1]
	v_add_f64_e64 v[36:37], v[12:13], -v[36:37]
	v_add_f64_e32 v[46:47], v[6:7], v[2:3]
	v_add_f64_e64 v[6:7], v[14:15], -v[6:7]
	;; [unrolled: 2-line block ×4, first 2 shown]
	v_mul_f64_e32 v[22:23], s[10:11], v[22:23]
	v_mul_f64_e32 v[26:27], s[6:7], v[26:27]
	;; [unrolled: 1-line block ×4, first 2 shown]
	v_add_f64_e32 v[12:13], v[44:45], v[12:13]
	v_add_f64_e32 v[14:15], v[46:47], v[14:15]
	;; [unrolled: 1-line block ×3, first 2 shown]
	v_add_f64_e64 v[10:11], v[28:29], -v[30:31]
	v_mul_f64_e32 v[28:29], s[16:17], v[20:21]
	v_mul_f64_e32 v[30:31], s[10:11], v[40:41]
	v_add_f64_e32 v[0:1], v[8:9], v[18:19]
	v_mul_f64_e32 v[40:41], s[2:3], v[42:43]
	v_add_f64_e64 v[8:9], v[32:33], -v[34:35]
	v_mul_f64_e32 v[32:33], s[16:17], v[4:5]
	v_fma_f64 v[34:35], v[36:37], s[20:21], v[22:23]
	v_fma_f64 v[20:21], v[20:21], s[16:17], v[24:25]
	;; [unrolled: 1-line block ×3, first 2 shown]
	v_fma_f64 v[36:37], v[36:37], s[22:23], -v[48:49]
	v_fma_f64 v[22:23], v[38:39], s[2:3], -v[22:23]
	v_fma_f64 v[16:17], v[16:17], s[12:13], v[2:3]
	v_fma_f64 v[24:25], v[10:11], s[18:19], -v[24:25]
	v_fma_f64 v[10:11], v[10:11], s[14:15], -v[28:29]
	v_fma_f64 v[28:29], v[6:7], s[20:21], v[30:31]
	v_fma_f64 v[18:19], v[18:19], s[12:13], v[0:1]
	v_fma_f64 v[6:7], v[6:7], s[22:23], -v[40:41]
	v_fma_f64 v[26:27], v[8:9], s[18:19], -v[26:27]
	;; [unrolled: 1-line block ×4, first 2 shown]
	v_fma_f64 v[32:33], v[12:13], s[24:25], v[34:35]
	v_fma_f64 v[34:35], v[12:13], s[24:25], v[36:37]
	;; [unrolled: 1-line block ×3, first 2 shown]
	v_add_f64_e32 v[20:21], v[20:21], v[16:17]
	v_add_f64_e32 v[22:23], v[24:25], v[16:17]
	;; [unrolled: 1-line block ×3, first 2 shown]
	v_fma_f64 v[28:29], v[14:15], s[24:25], v[28:29]
	v_add_f64_e32 v[4:5], v[4:5], v[18:19]
	v_fma_f64 v[36:37], v[14:15], s[24:25], v[6:7]
	v_add_f64_e32 v[38:39], v[26:27], v[18:19]
	;; [unrolled: 2-line block ×3, first 2 shown]
	v_add_f64_e64 v[26:27], v[20:21], -v[32:33]
	v_add_f64_e32 v[6:7], v[32:33], v[20:21]
	v_add_f64_e32 v[10:11], v[34:35], v[22:23]
	v_add_f64_e64 v[22:23], v[22:23], -v[34:35]
	v_add_f64_e32 v[24:25], v[28:29], v[4:5]
	v_add_f64_e64 v[14:15], v[16:17], -v[12:13]
	v_add_f64_e32 v[20:21], v[36:37], v[38:39]
	v_add_f64_e32 v[18:19], v[12:13], v[16:17]
	v_add_f64_e64 v[16:17], v[8:9], -v[30:31]
	v_add_f64_e32 v[12:13], v[30:31], v[8:9]
	v_add_f64_e64 v[8:9], v[38:39], -v[36:37]
	v_add_f64_e64 v[4:5], v[4:5], -v[28:29]
	v_lshl_add_u32 v28, v65, 4, 0
	ds_store_b128 v28, v[0:3] offset:14560
	ds_store_b128 v28, v[24:27] offset:16640
	;; [unrolled: 1-line block ×7, first 2 shown]
.LBB0_25:
	s_wait_alu 0xfffe
	s_or_b32 exec_lo, exec_lo, s1
	global_wb scope:SCOPE_SE
	s_wait_dscnt 0x0
	s_barrier_signal -1
	s_clause 0x1
	scratch_load_b64 v[0:1], off, off th:TH_LOAD_LU
	scratch_load_b64 v[2:3], off, off offset:16 th:TH_LOAD_LU
	s_barrier_wait -1
	s_wait_loadcnt 0x0
	global_inv scope:SCOPE_SE
	v_add_co_u32 v0, s0, s4, v0
	s_wait_alu 0xf1ff
	v_add_co_ci_u32_e64 v1, s0, s5, v1, s0
	v_add_co_u32 v16, s0, s4, v2
	s_wait_alu 0xf1ff
	v_add_co_ci_u32_e64 v17, s0, s5, v3, s0
	s_clause 0x4
	global_load_b128 v[0:3], v[0:1], off offset:14400
	global_load_b128 v[4:7], v[16:17], off offset:17312
	;; [unrolled: 1-line block ×5, first 2 shown]
	ds_load_b128 v[20:23], v252 offset:14560
	ds_load_b128 v[24:27], v252 offset:17472
	;; [unrolled: 1-line block ×6, first 2 shown]
	s_wait_loadcnt_dscnt 0x405
	v_mul_f64_e32 v[44:45], v[22:23], v[2:3]
	v_mul_f64_e32 v[2:3], v[20:21], v[2:3]
	s_wait_loadcnt_dscnt 0x304
	v_mul_f64_e32 v[46:47], v[26:27], v[6:7]
	v_mul_f64_e32 v[6:7], v[24:25], v[6:7]
	s_wait_loadcnt_dscnt 0x203
	v_mul_f64_e32 v[48:49], v[30:31], v[10:11]
	v_mul_f64_e32 v[10:11], v[28:29], v[10:11]
	s_wait_loadcnt_dscnt 0x102
	v_mul_f64_e32 v[50:51], v[34:35], v[14:15]
	v_mul_f64_e32 v[14:15], v[32:33], v[14:15]
	s_wait_loadcnt_dscnt 0x1
	v_mul_f64_e32 v[52:53], v[38:39], v[18:19]
	v_mul_f64_e32 v[18:19], v[36:37], v[18:19]
	v_fma_f64 v[20:21], v[20:21], v[0:1], v[44:45]
	v_fma_f64 v[22:23], v[22:23], v[0:1], -v[2:3]
	v_fma_f64 v[24:25], v[24:25], v[4:5], v[46:47]
	v_fma_f64 v[26:27], v[26:27], v[4:5], -v[6:7]
	;; [unrolled: 2-line block ×5, first 2 shown]
	ds_load_b128 v[0:3], v252
	ds_load_b128 v[4:7], v252 offset:2912
	ds_load_b128 v[8:11], v252 offset:5824
	;; [unrolled: 1-line block ×3, first 2 shown]
	global_wb scope:SCOPE_SE
	s_wait_dscnt 0x0
	s_barrier_signal -1
	s_barrier_wait -1
	global_inv scope:SCOPE_SE
	v_add_f64_e64 v[16:17], v[0:1], -v[20:21]
	v_add_f64_e64 v[18:19], v[2:3], -v[22:23]
	v_add_f64_e64 v[20:21], v[4:5], -v[24:25]
	v_add_f64_e64 v[22:23], v[6:7], -v[26:27]
	v_add_f64_e64 v[24:25], v[8:9], -v[28:29]
	v_add_f64_e64 v[26:27], v[10:11], -v[30:31]
	v_add_f64_e64 v[28:29], v[12:13], -v[32:33]
	v_add_f64_e64 v[30:31], v[14:15], -v[34:35]
	v_add_f64_e64 v[32:33], v[40:41], -v[36:37]
	v_add_f64_e64 v[34:35], v[42:43], -v[38:39]
	v_fma_f64 v[0:1], v[0:1], 2.0, -v[16:17]
	v_fma_f64 v[2:3], v[2:3], 2.0, -v[18:19]
	;; [unrolled: 1-line block ×10, first 2 shown]
	ds_store_b128 v252, v[20:23] offset:17472
	ds_store_b128 v252, v[24:27] offset:20384
	;; [unrolled: 1-line block ×4, first 2 shown]
	ds_store_b128 v252, v[0:3]
	ds_store_b128 v252, v[4:7] offset:2912
	ds_store_b128 v252, v[8:11] offset:5824
	;; [unrolled: 1-line block ×5, first 2 shown]
	global_wb scope:SCOPE_SE
	s_wait_dscnt 0x0
	s_barrier_signal -1
	s_barrier_wait -1
	global_inv scope:SCOPE_SE
	s_and_saveexec_b32 s0, vcc_lo
	s_cbranch_execz .LBB0_27
; %bb.26:
	scratch_load_b64 v[0:1], off, off offset:8 th:TH_LOAD_LU ; 8-byte Folded Reload
	v_dual_mov_b32 v57, 0 :: v_dual_add_nc_u32 v8, 0xb6, v56
	v_lshl_add_u32 v34, v56, 4, 0
	v_add_nc_u32_e32 v10, 0x16c, v56
	s_delay_alu instid0(VALU_DEP_3) | instskip(SKIP_3) | instid1(VALU_DEP_4)
	v_dual_mov_b32 v9, v57 :: v_dual_add_nc_u32 v22, 0x222, v56
	v_mov_b32_e32 v11, v57
	v_dual_mov_b32 v23, v57 :: v_dual_add_nc_u32 v24, 0x2d8, v56
	v_mov_b32_e32 v25, v57
	v_lshlrev_b64_e32 v[18:19], 4, v[8:9]
	s_delay_alu instid0(VALU_DEP_4) | instskip(NEXT) | instid1(VALU_DEP_4)
	v_lshlrev_b64_e32 v[20:21], 4, v[10:11]
	v_lshlrev_b64_e32 v[22:23], 4, v[22:23]
	s_wait_loadcnt 0x0
	v_add_co_u32 v36, vcc_lo, s8, v0
	s_wait_alu 0xfffd
	v_add_co_ci_u32_e32 v37, vcc_lo, s9, v1, vcc_lo
	v_lshlrev_b64_e32 v[0:1], 4, v[56:57]
	s_delay_alu instid0(VALU_DEP_1) | instskip(SKIP_1) | instid1(VALU_DEP_2)
	v_add_co_u32 v16, vcc_lo, v36, v0
	s_wait_alu 0xfffd
	v_add_co_ci_u32_e32 v17, vcc_lo, v37, v1, vcc_lo
	ds_load_b128 v[0:3], v34
	ds_load_b128 v[4:7], v34 offset:2912
	ds_load_b128 v[8:11], v34 offset:5824
	;; [unrolled: 1-line block ×3, first 2 shown]
	v_add_co_u32 v18, vcc_lo, v36, v18
	s_wait_alu 0xfffd
	v_add_co_ci_u32_e32 v19, vcc_lo, v37, v19, vcc_lo
	v_add_co_u32 v20, vcc_lo, v36, v20
	s_wait_alu 0xfffd
	v_add_co_ci_u32_e32 v21, vcc_lo, v37, v21, vcc_lo
	;; [unrolled: 3-line block ×3, first 2 shown]
	s_wait_dscnt 0x3
	global_store_b128 v[16:17], v[0:3], off
	s_wait_dscnt 0x2
	global_store_b128 v[18:19], v[4:7], off
	v_dual_mov_b32 v3, v57 :: v_dual_add_nc_u32 v2, 0x38e, v56
	v_lshlrev_b64_e32 v[0:1], 4, v[24:25]
	s_wait_dscnt 0x1
	global_store_b128 v[20:21], v[8:11], off
	s_wait_dscnt 0x0
	global_store_b128 v[22:23], v[12:15], off
	v_dual_mov_b32 v11, v57 :: v_dual_add_nc_u32 v10, 0x444, v56
	v_add_nc_u32_e32 v16, 0x4fa, v56
	v_lshlrev_b64_e32 v[8:9], 4, v[2:3]
	v_add_co_u32 v24, vcc_lo, v36, v0
	s_wait_alu 0xfffd
	v_add_co_ci_u32_e32 v25, vcc_lo, v37, v1, vcc_lo
	v_dual_mov_b32 v17, v57 :: v_dual_add_nc_u32 v18, 0x5b0, v56
	s_delay_alu instid0(VALU_DEP_4)
	v_add_co_u32 v26, vcc_lo, v36, v8
	s_wait_alu 0xfffd
	v_add_co_ci_u32_e32 v27, vcc_lo, v37, v9, vcc_lo
	v_lshlrev_b64_e32 v[8:9], 4, v[10:11]
	v_dual_mov_b32 v19, v57 :: v_dual_add_nc_u32 v56, 0x666, v56
	ds_load_b128 v[0:3], v34 offset:11648
	ds_load_b128 v[4:7], v34 offset:14560
	v_lshlrev_b64_e32 v[30:31], 4, v[16:17]
	v_add_co_u32 v28, vcc_lo, v36, v8
	s_wait_alu 0xfffd
	v_add_co_ci_u32_e32 v29, vcc_lo, v37, v9, vcc_lo
	ds_load_b128 v[8:11], v34 offset:17472
	ds_load_b128 v[12:15], v34 offset:20384
	v_lshlrev_b64_e32 v[32:33], 4, v[18:19]
	ds_load_b128 v[16:19], v34 offset:23296
	ds_load_b128 v[20:23], v34 offset:26208
	v_add_co_u32 v30, vcc_lo, v36, v30
	v_lshlrev_b64_e32 v[34:35], 4, v[56:57]
	s_wait_alu 0xfffd
	v_add_co_ci_u32_e32 v31, vcc_lo, v37, v31, vcc_lo
	v_add_co_u32 v32, vcc_lo, v36, v32
	s_wait_alu 0xfffd
	v_add_co_ci_u32_e32 v33, vcc_lo, v37, v33, vcc_lo
	v_add_co_u32 v34, vcc_lo, v36, v34
	s_wait_alu 0xfffd
	v_add_co_ci_u32_e32 v35, vcc_lo, v37, v35, vcc_lo
	s_wait_dscnt 0x5
	global_store_b128 v[24:25], v[0:3], off
	s_wait_dscnt 0x4
	global_store_b128 v[26:27], v[4:7], off
	;; [unrolled: 2-line block ×6, first 2 shown]
.LBB0_27:
	s_nop 0
	s_sendmsg sendmsg(MSG_DEALLOC_VGPRS)
	s_endpgm
	.section	.rodata,"a",@progbits
	.p2align	6, 0x0
	.amdhsa_kernel fft_rtc_back_len1820_factors_10_13_7_2_wgs_182_tpt_182_halfLds_dp_ip_CI_unitstride_sbrr_C2R_dirReg
		.amdhsa_group_segment_fixed_size 0
		.amdhsa_private_segment_fixed_size 28
		.amdhsa_kernarg_size 88
		.amdhsa_user_sgpr_count 2
		.amdhsa_user_sgpr_dispatch_ptr 0
		.amdhsa_user_sgpr_queue_ptr 0
		.amdhsa_user_sgpr_kernarg_segment_ptr 1
		.amdhsa_user_sgpr_dispatch_id 0
		.amdhsa_user_sgpr_private_segment_size 0
		.amdhsa_wavefront_size32 1
		.amdhsa_uses_dynamic_stack 0
		.amdhsa_enable_private_segment 1
		.amdhsa_system_sgpr_workgroup_id_x 1
		.amdhsa_system_sgpr_workgroup_id_y 0
		.amdhsa_system_sgpr_workgroup_id_z 0
		.amdhsa_system_sgpr_workgroup_info 0
		.amdhsa_system_vgpr_workitem_id 0
		.amdhsa_next_free_vgpr 256
		.amdhsa_next_free_sgpr 44
		.amdhsa_reserve_vcc 1
		.amdhsa_float_round_mode_32 0
		.amdhsa_float_round_mode_16_64 0
		.amdhsa_float_denorm_mode_32 3
		.amdhsa_float_denorm_mode_16_64 3
		.amdhsa_fp16_overflow 0
		.amdhsa_workgroup_processor_mode 1
		.amdhsa_memory_ordered 1
		.amdhsa_forward_progress 0
		.amdhsa_round_robin_scheduling 0
		.amdhsa_exception_fp_ieee_invalid_op 0
		.amdhsa_exception_fp_denorm_src 0
		.amdhsa_exception_fp_ieee_div_zero 0
		.amdhsa_exception_fp_ieee_overflow 0
		.amdhsa_exception_fp_ieee_underflow 0
		.amdhsa_exception_fp_ieee_inexact 0
		.amdhsa_exception_int_div_zero 0
	.end_amdhsa_kernel
	.text
.Lfunc_end0:
	.size	fft_rtc_back_len1820_factors_10_13_7_2_wgs_182_tpt_182_halfLds_dp_ip_CI_unitstride_sbrr_C2R_dirReg, .Lfunc_end0-fft_rtc_back_len1820_factors_10_13_7_2_wgs_182_tpt_182_halfLds_dp_ip_CI_unitstride_sbrr_C2R_dirReg
                                        ; -- End function
	.section	.AMDGPU.csdata,"",@progbits
; Kernel info:
; codeLenInByte = 11500
; NumSgprs: 46
; NumVgprs: 256
; ScratchSize: 28
; MemoryBound: 0
; FloatMode: 240
; IeeeMode: 1
; LDSByteSize: 0 bytes/workgroup (compile time only)
; SGPRBlocks: 5
; VGPRBlocks: 31
; NumSGPRsForWavesPerEU: 46
; NumVGPRsForWavesPerEU: 256
; Occupancy: 5
; WaveLimiterHint : 1
; COMPUTE_PGM_RSRC2:SCRATCH_EN: 1
; COMPUTE_PGM_RSRC2:USER_SGPR: 2
; COMPUTE_PGM_RSRC2:TRAP_HANDLER: 0
; COMPUTE_PGM_RSRC2:TGID_X_EN: 1
; COMPUTE_PGM_RSRC2:TGID_Y_EN: 0
; COMPUTE_PGM_RSRC2:TGID_Z_EN: 0
; COMPUTE_PGM_RSRC2:TIDIG_COMP_CNT: 0
	.text
	.p2alignl 7, 3214868480
	.fill 96, 4, 3214868480
	.type	__hip_cuid_eab5d92a5e731509,@object ; @__hip_cuid_eab5d92a5e731509
	.section	.bss,"aw",@nobits
	.globl	__hip_cuid_eab5d92a5e731509
__hip_cuid_eab5d92a5e731509:
	.byte	0                               ; 0x0
	.size	__hip_cuid_eab5d92a5e731509, 1

	.ident	"AMD clang version 19.0.0git (https://github.com/RadeonOpenCompute/llvm-project roc-6.4.0 25133 c7fe45cf4b819c5991fe208aaa96edf142730f1d)"
	.section	".note.GNU-stack","",@progbits
	.addrsig
	.addrsig_sym __hip_cuid_eab5d92a5e731509
	.amdgpu_metadata
---
amdhsa.kernels:
  - .args:
      - .actual_access:  read_only
        .address_space:  global
        .offset:         0
        .size:           8
        .value_kind:     global_buffer
      - .offset:         8
        .size:           8
        .value_kind:     by_value
      - .actual_access:  read_only
        .address_space:  global
        .offset:         16
        .size:           8
        .value_kind:     global_buffer
      - .actual_access:  read_only
        .address_space:  global
        .offset:         24
        .size:           8
        .value_kind:     global_buffer
      - .offset:         32
        .size:           8
        .value_kind:     by_value
      - .actual_access:  read_only
        .address_space:  global
        .offset:         40
        .size:           8
        .value_kind:     global_buffer
      - .actual_access:  read_only
        .address_space:  global
        .offset:         48
        .size:           8
        .value_kind:     global_buffer
      - .offset:         56
        .size:           4
        .value_kind:     by_value
      - .actual_access:  read_only
        .address_space:  global
        .offset:         64
        .size:           8
        .value_kind:     global_buffer
      - .actual_access:  read_only
        .address_space:  global
        .offset:         72
        .size:           8
        .value_kind:     global_buffer
      - .address_space:  global
        .offset:         80
        .size:           8
        .value_kind:     global_buffer
    .group_segment_fixed_size: 0
    .kernarg_segment_align: 8
    .kernarg_segment_size: 88
    .language:       OpenCL C
    .language_version:
      - 2
      - 0
    .max_flat_workgroup_size: 182
    .name:           fft_rtc_back_len1820_factors_10_13_7_2_wgs_182_tpt_182_halfLds_dp_ip_CI_unitstride_sbrr_C2R_dirReg
    .private_segment_fixed_size: 28
    .sgpr_count:     46
    .sgpr_spill_count: 0
    .symbol:         fft_rtc_back_len1820_factors_10_13_7_2_wgs_182_tpt_182_halfLds_dp_ip_CI_unitstride_sbrr_C2R_dirReg.kd
    .uniform_work_group_size: 1
    .uses_dynamic_stack: false
    .vgpr_count:     256
    .vgpr_spill_count: 6
    .wavefront_size: 32
    .workgroup_processor_mode: 1
amdhsa.target:   amdgcn-amd-amdhsa--gfx1201
amdhsa.version:
  - 1
  - 2
...

	.end_amdgpu_metadata
